;; amdgpu-corpus repo=ROCm/rocFFT kind=compiled arch=gfx950 opt=O3
	.text
	.amdgcn_target "amdgcn-amd-amdhsa--gfx950"
	.amdhsa_code_object_version 6
	.protected	bluestein_single_fwd_len864_dim1_sp_op_CI_CI ; -- Begin function bluestein_single_fwd_len864_dim1_sp_op_CI_CI
	.globl	bluestein_single_fwd_len864_dim1_sp_op_CI_CI
	.p2align	8
	.type	bluestein_single_fwd_len864_dim1_sp_op_CI_CI,@function
bluestein_single_fwd_len864_dim1_sp_op_CI_CI: ; @bluestein_single_fwd_len864_dim1_sp_op_CI_CI
; %bb.0:
	s_load_dwordx4 s[8:11], s[0:1], 0x28
	v_mul_u32_u24_e32 v1, 0x4be, v0
	v_mov_b32_e32 v127, 0
	v_add_u32_sdwa v134, s2, v1 dst_sel:DWORD dst_unused:UNUSED_PAD src0_sel:DWORD src1_sel:WORD_1
	v_mov_b32_e32 v135, v127
	s_waitcnt lgkmcnt(0)
	v_cmp_gt_u64_e32 vcc, s[8:9], v[134:135]
	s_and_saveexec_b64 s[2:3], vcc
	s_cbranch_execz .LBB0_31
; %bb.1:
	s_load_dwordx4 s[4:7], s[0:1], 0x18
	s_load_dwordx2 s[14:15], s[0:1], 0x0
	v_mov_b32_e32 v2, s10
	v_mov_b32_e32 v3, s11
	;; [unrolled: 1-line block ×3, first 2 shown]
	s_waitcnt lgkmcnt(0)
	s_load_dwordx4 s[8:11], s[4:5], 0x0
	v_mul_lo_u16_sdwa v1, v1, v4 dst_sel:DWORD dst_unused:UNUSED_PAD src0_sel:WORD_1 src1_sel:DWORD
	v_sub_u16_e32 v126, v0, v1
	v_lshlrev_b32_e32 v106, 3, v126
	v_mov_b32_e32 v107, v127
	s_waitcnt lgkmcnt(0)
	v_mad_u64_u32 v[0:1], s[2:3], s10, v134, 0
	v_mov_b32_e32 v4, v1
	v_mad_u64_u32 v[4:5], s[2:3], s11, v134, v[4:5]
	v_mov_b32_e32 v1, v4
	v_mad_u64_u32 v[4:5], s[2:3], s8, v126, 0
	v_mov_b32_e32 v6, v5
	v_mad_u64_u32 v[6:7], s[2:3], s9, v126, v[6:7]
	v_lshl_add_u64 v[108:109], s[14:15], 0, v[106:107]
	v_or_b32_e32 v107, 0x240, v126
	v_mov_b32_e32 v5, v6
	v_mad_u64_u32 v[6:7], s[4:5], s8, v107, 0
	v_mov_b32_e32 v8, v7
	s_mul_i32 s2, s9, 0x120
	s_mul_hi_u32 s3, s8, 0x120
	v_mad_u64_u32 v[8:9], s[4:5], s9, v107, v[8:9]
	v_lshl_add_u64 v[0:1], v[0:1], 3, v[2:3]
	s_add_i32 s3, s3, s2
	s_mul_i32 s2, s8, 0x120
	v_mov_b32_e32 v7, v8
	v_lshl_add_u64 v[2:3], v[4:5], 3, v[0:1]
	s_lshl_b64 s[2:3], s[2:3], 3
	v_lshl_add_u64 v[0:1], v[6:7], 3, v[0:1]
	v_lshl_add_u64 v[4:5], v[2:3], 0, s[2:3]
	global_load_dwordx2 v[140:141], v106, s[14:15] offset:2304
	global_load_dwordx2 v[6:7], v[2:3], off
	global_load_dwordx2 v[8:9], v[4:5], off
	;; [unrolled: 1-line block ×3, first 2 shown]
	v_lshlrev_b32_e32 v160, 3, v107
	v_mov_b32_e32 v0, 0xfffff8b0
	global_load_dwordx2 v[138:139], v160, s[14:15]
	global_load_dwordx2 v[142:143], v106, s[14:15]
	v_mad_u64_u32 v[0:1], s[4:5], s8, v0, v[4:5]
	s_mul_i32 s4, s9, 0xfffff8b0
	s_sub_i32 s4, s4, s8
	v_add_u32_e32 v1, s4, v1
	global_load_dwordx2 v[4:5], v[0:1], off
	global_load_dwordx2 v[136:137], v106, s[14:15] offset:432
	v_lshl_add_u64 v[0:1], v[0:1], 0, s[2:3]
	s_movk_i32 s4, 0x1000
	s_mul_hi_u32 s5, s8, 0xfffffdf6
	global_load_dwordx2 v[130:131], v106, s[14:15] offset:2736
	v_lshl_add_u64 v[2:3], v[0:1], 0, s[2:3]
	global_load_dwordx2 v[12:13], v[0:1], off
	global_load_dwordx2 v[14:15], v[2:3], off
	v_add_co_u32_e32 v0, vcc, s4, v108
	s_mul_i32 s4, s9, 0xfffffdf6
	s_sub_i32 s5, s5, s8
	s_add_i32 s5, s5, s4
	s_mul_i32 s4, s8, 0xfffffdf6
	s_lshl_b64 s[8:9], s[4:5], 3
	v_addc_co_u32_e32 v1, vcc, 0, v109, vcc
	v_lshl_add_u64 v[2:3], v[2:3], 0, s[8:9]
	global_load_dwordx2 v[132:133], v[0:1], off offset:944
	global_load_dwordx2 v[16:17], v[2:3], off
	global_load_dwordx2 v[128:129], v106, s[14:15] offset:864
	v_lshl_add_u64 v[2:3], v[2:3], 0, s[2:3]
	global_load_dwordx2 v[18:19], v[2:3], off
	global_load_dwordx2 v[124:125], v106, s[14:15] offset:3168
	v_lshl_add_u64 v[2:3], v[2:3], 0, s[2:3]
	global_load_dwordx2 v[20:21], v[2:3], off
	global_load_dwordx2 v[122:123], v[0:1], off offset:1376
	v_lshl_add_u64 v[2:3], v[2:3], 0, s[8:9]
	global_load_dwordx2 v[22:23], v[2:3], off
	global_load_dwordx2 v[120:121], v106, s[14:15] offset:1296
	v_lshl_add_u64 v[2:3], v[2:3], 0, s[2:3]
	global_load_dwordx2 v[24:25], v[2:3], off
	global_load_dwordx2 v[118:119], v106, s[14:15] offset:3600
	v_lshl_add_u64 v[2:3], v[2:3], 0, s[2:3]
	global_load_dwordx2 v[26:27], v[2:3], off
	global_load_dwordx2 v[116:117], v[0:1], off offset:1808
	v_lshl_add_u64 v[2:3], v[2:3], 0, s[8:9]
	global_load_dwordx2 v[28:29], v[2:3], off
	global_load_dwordx2 v[114:115], v106, s[14:15] offset:1728
	v_lshl_add_u64 v[2:3], v[2:3], 0, s[2:3]
	global_load_dwordx2 v[30:31], v[2:3], off
	global_load_dwordx2 v[112:113], v106, s[14:15] offset:4032
	v_lshl_add_u64 v[2:3], v[2:3], 0, s[2:3]
	global_load_dwordx2 v[32:33], v[2:3], off
	global_load_dwordx2 v[110:111], v[0:1], off offset:2240
	s_load_dwordx2 s[12:13], s[0:1], 0x38
	s_load_dwordx4 s[8:11], s[6:7], 0x0
	v_cmp_gt_u16_e32 vcc, 18, v126
	s_waitcnt vmcnt(24)
	v_mul_f32_e32 v34, v6, v143
	v_fma_f32 v35, v7, v142, -v34
	v_mul_f32_e32 v34, v7, v143
	v_fmac_f32_e32 v34, v6, v142
	v_mul_f32_e32 v6, v8, v141
	v_fma_f32 v7, v9, v140, -v6
	v_mul_f32_e32 v6, v9, v141
	v_fmac_f32_e32 v6, v8, v140
	ds_write_b64 v106, v[6:7] offset:2304
	v_mul_f32_e32 v6, v11, v139
	v_mul_f32_e32 v7, v10, v139
	v_fmac_f32_e32 v6, v10, v138
	v_fma_f32 v7, v11, v138, -v7
	ds_write_b64 v106, v[6:7] offset:4608
	s_waitcnt vmcnt(22)
	v_mul_f32_e32 v6, v5, v137
	v_fmac_f32_e32 v6, v4, v136
	v_mul_f32_e32 v4, v4, v137
	v_fma_f32 v7, v5, v136, -v4
	s_waitcnt vmcnt(20)
	v_mul_f32_e32 v4, v13, v131
	v_fmac_f32_e32 v4, v12, v130
	v_mul_f32_e32 v5, v12, v131
	v_fma_f32 v5, v13, v130, -v5
	ds_write2_b64 v106, v[34:35], v[6:7] offset1:54
	s_waitcnt vmcnt(18)
	v_mul_f32_e32 v6, v15, v133
	s_waitcnt vmcnt(16)
	v_mul_f32_e32 v8, v16, v129
	v_fma_f32 v11, v17, v128, -v8
	s_waitcnt vmcnt(14)
	v_mul_f32_e32 v12, v19, v125
	v_mul_f32_e32 v8, v18, v125
	v_fmac_f32_e32 v12, v18, v124
	v_fma_f32 v13, v19, v124, -v8
	v_add_u32_e32 v8, 0x800, v106
	v_mul_f32_e32 v7, v14, v133
	ds_write2_b64 v8, v[4:5], v[12:13] offset0:86 offset1:140
	s_waitcnt vmcnt(12)
	v_mul_f32_e32 v12, v21, v123
	v_mul_f32_e32 v4, v20, v123
	v_fmac_f32_e32 v6, v14, v132
	v_fma_f32 v7, v15, v132, -v7
	v_fmac_f32_e32 v12, v20, v122
	v_fma_f32 v13, v21, v122, -v4
	v_add_u32_e32 v4, 0x1000, v106
	v_mul_f32_e32 v10, v17, v129
	ds_write2_b64 v4, v[6:7], v[12:13] offset0:118 offset1:172
	s_waitcnt vmcnt(10)
	v_mul_f32_e32 v6, v23, v121
	v_mul_f32_e32 v5, v22, v121
	v_fmac_f32_e32 v10, v16, v128
	v_fmac_f32_e32 v6, v22, v120
	v_fma_f32 v7, v23, v120, -v5
	s_waitcnt vmcnt(8)
	v_mul_f32_e32 v5, v24, v119
	ds_write2_b64 v106, v[10:11], v[6:7] offset0:108 offset1:162
	v_fma_f32 v7, v25, v118, -v5
	s_waitcnt vmcnt(6)
	v_mul_f32_e32 v5, v26, v117
	v_fma_f32 v11, v27, v116, -v5
	s_waitcnt vmcnt(4)
	v_mul_f32_e32 v12, v29, v115
	v_mul_f32_e32 v5, v28, v115
	v_fmac_f32_e32 v12, v28, v114
	v_fma_f32 v13, v29, v114, -v5
	v_mul_f32_e32 v6, v25, v119
	ds_write_b64 v106, v[12:13] offset:1728
	s_waitcnt vmcnt(2)
	v_mul_f32_e32 v12, v31, v113
	v_mul_f32_e32 v5, v30, v113
	v_fmac_f32_e32 v6, v24, v118
	v_fmac_f32_e32 v12, v30, v112
	v_fma_f32 v13, v31, v112, -v5
	v_mul_f32_e32 v10, v27, v117
	ds_write2_b64 v8, v[6:7], v[12:13] offset0:194 offset1:248
	s_waitcnt vmcnt(0)
	v_mul_f32_e32 v6, v33, v111
	v_mul_f32_e32 v5, v32, v111
	v_fmac_f32_e32 v10, v26, v116
	v_fmac_f32_e32 v6, v32, v110
	v_fma_f32 v7, v33, v110, -v5
	v_add_u32_e32 v5, 0x1400, v106
	ds_write2_b64 v5, v[10:11], v[6:7] offset0:98 offset1:152
	s_and_saveexec_b64 s[6:7], vcc
	s_cbranch_execz .LBB0_3
; %bb.2:
	v_lshl_add_u64 v[2:3], s[4:5], 3, v[2:3]
	global_load_dwordx2 v[6:7], v[2:3], off
	global_load_dwordx2 v[10:11], v[108:109], off offset:2160
	v_lshl_add_u64 v[2:3], v[2:3], 0, s[2:3]
	global_load_dwordx2 v[12:13], v[2:3], off
	global_load_dwordx2 v[14:15], v[0:1], off offset:368
	global_load_dwordx2 v[16:17], v[0:1], off offset:2672
	v_lshl_add_u64 v[0:1], v[2:3], 0, s[2:3]
	global_load_dwordx2 v[0:1], v[0:1], off
	s_waitcnt vmcnt(4)
	v_mul_f32_e32 v2, v7, v11
	v_mul_f32_e32 v3, v6, v11
	v_fmac_f32_e32 v2, v6, v10
	v_fma_f32 v3, v7, v10, -v3
	s_waitcnt vmcnt(2)
	v_mul_f32_e32 v6, v13, v15
	v_mul_f32_e32 v5, v12, v15
	ds_write_b64 v106, v[2:3] offset:2160
	s_waitcnt vmcnt(0)
	v_mul_f32_e32 v2, v1, v17
	v_mul_f32_e32 v3, v0, v17
	v_fmac_f32_e32 v6, v12, v14
	v_fma_f32 v7, v13, v14, -v5
	v_fmac_f32_e32 v2, v0, v16
	v_fma_f32 v3, v1, v16, -v3
	ds_write_b64 v106, v[6:7] offset:4464
	ds_write_b64 v106, v[2:3] offset:6768
.LBB0_3:
	s_or_b64 exec, exec, s[6:7]
	v_add_u32_e32 v0, 0x400, v106
	s_waitcnt lgkmcnt(0)
	; wave barrier
	s_waitcnt lgkmcnt(0)
	ds_read2_b64 v[22:25], v106 offset1:54
	ds_read2_b64 v[30:33], v0 offset0:88 offset1:160
	ds_read2_b64 v[26:29], v4 offset0:64 offset1:118
	;; [unrolled: 1-line block ×6, first 2 shown]
	ds_read_b64 v[18:19], v106 offset:6336
                                        ; implicit-def: $vgpr34
                                        ; implicit-def: $vgpr36
                                        ; implicit-def: $vgpr38
	s_and_saveexec_b64 s[2:3], vcc
	s_cbranch_execz .LBB0_5
; %bb.4:
	ds_read_b64 v[34:35], v106 offset:2160
	ds_read_b64 v[36:37], v106 offset:4464
	;; [unrolled: 1-line block ×3, first 2 shown]
.LBB0_5:
	s_or_b64 exec, exec, s[2:3]
	s_mov_b64 s[2:3], 0x6c
	v_lshl_add_u64 v[64:65], v[126:127], 0, s[2:3]
	s_mov_b64 s[2:3], 0xa2
	v_lshl_add_u64 v[68:69], v[126:127], 0, s[2:3]
	s_mov_b64 s[2:3], 0xd8
	v_lshl_add_u64 v[70:71], v[126:127], 0, s[2:3]
	s_mov_b64 s[2:3], 0x10e
	v_lshl_add_u64 v[72:73], v[126:127], 0, s[2:3]
	s_waitcnt lgkmcnt(1)
	v_pk_add_f32 v[16:17], v[30:31], v[10:11]
	s_waitcnt lgkmcnt(0)
	v_pk_add_f32 v[20:21], v[10:11], v[18:19]
	v_pk_add_f32 v[10:11], v[10:11], v[18:19] neg_lo:[0,1] neg_hi:[0,1]
	s_mov_b32 s2, 0x3f5db3d7
	v_pk_fma_f32 v[30:31], v[20:21], 0.5, v[30:31] op_sel_hi:[1,0,1] neg_lo:[1,0,0] neg_hi:[1,0,0]
	v_pk_mul_f32 v[10:11], v[10:11], s[2:3] op_sel_hi:[1,0]
	v_pk_add_f32 v[16:17], v[16:17], v[18:19]
	v_pk_add_f32 v[20:21], v[30:31], v[10:11] op_sel:[0,1] op_sel_hi:[1,0] neg_lo:[0,1] neg_hi:[0,1]
	v_pk_add_f32 v[66:67], v[10:11], v[30:31] op_sel:[1,0] op_sel_hi:[0,1]
	v_pk_add_f32 v[10:11], v[34:35], v[36:37]
	v_pk_add_f32 v[30:31], v[36:37], v[38:39] neg_lo:[0,1] neg_hi:[0,1]
	v_pk_add_f32 v[18:19], v[10:11], v[38:39]
	v_pk_add_f32 v[10:11], v[36:37], v[38:39]
	v_pk_mul_f32 v[30:31], v[30:31], s[2:3] op_sel_hi:[1,0]
	v_pk_fma_f32 v[10:11], v[10:11], 0.5, v[34:35] op_sel_hi:[1,0,1] neg_lo:[1,0,0] neg_hi:[1,0,0]
	v_pk_add_f32 v[40:41], v[22:23], v[32:33]
	v_pk_add_f32 v[38:39], v[10:11], v[30:31] op_sel:[0,1] op_sel_hi:[1,0] neg_lo:[0,1] neg_hi:[0,1]
	v_pk_add_f32 v[62:63], v[10:11], v[30:31] op_sel:[0,1] op_sel_hi:[1,0]
	v_mul_lo_u16_e32 v10, 3, v126
	v_lshlrev_b32_e32 v164, 3, v10
	v_pk_add_f32 v[10:11], v[40:41], v[26:27]
	v_pk_add_f32 v[30:31], v[32:33], v[26:27]
	v_pk_add_f32 v[26:27], v[32:33], v[26:27] neg_lo:[0,1] neg_hi:[0,1]
	v_pk_fma_f32 v[22:23], v[30:31], 0.5, v[22:23] op_sel_hi:[1,0,1] neg_lo:[1,0,0] neg_hi:[1,0,0]
	v_pk_mul_f32 v[26:27], v[26:27], s[2:3] op_sel_hi:[1,0]
	v_pk_add_f32 v[42:43], v[24:25], v[12:13]
	v_pk_add_f32 v[30:31], v[22:23], v[26:27] op_sel:[0,1] op_sel_hi:[1,0]
	v_pk_add_f32 v[22:23], v[22:23], v[26:27] op_sel:[0,1] op_sel_hi:[1,0] neg_lo:[0,1] neg_hi:[0,1]
	s_nop 0
	v_mov_b32_e32 v27, v23
	v_mov_b32_e32 v23, v31
	; wave barrier
	ds_write_b64 v164, v[22:23] offset:16
	v_pk_add_f32 v[22:23], v[12:13], v[28:29]
	v_pk_add_f32 v[12:13], v[12:13], v[28:29] neg_lo:[0,1] neg_hi:[0,1]
	v_lshl_add_u64 v[60:61], v[126:127], 0, 54
	v_mov_b32_e32 v26, v30
	v_pk_fma_f32 v[22:23], v[22:23], 0.5, v[24:25] op_sel_hi:[1,0,1] neg_lo:[1,0,0] neg_hi:[1,0,0]
	v_pk_mul_f32 v[12:13], v[12:13], s[2:3] op_sel_hi:[1,0]
	ds_write2_b64 v164, v[10:11], v[26:27] offset1:1
	v_mul_u32_u24_e32 v10, 3, v60
	v_pk_add_f32 v[24:25], v[22:23], v[12:13] op_sel:[0,1] op_sel_hi:[1,0]
	v_pk_add_f32 v[12:13], v[22:23], v[12:13] op_sel:[0,1] op_sel_hi:[1,0] neg_lo:[0,1] neg_hi:[0,1]
	v_lshlrev_b32_e32 v165, 3, v10
	v_pk_add_f32 v[10:11], v[42:43], v[28:29]
	v_mov_b32_e32 v22, v24
	v_mov_b32_e32 v23, v13
	v_pk_add_f32 v[44:45], v[0:1], v[14:15]
	ds_write2_b64 v165, v[10:11], v[22:23] offset1:1
	v_mov_b32_e32 v13, v25
	v_mul_u32_u24_e32 v10, 3, v64
	ds_write_b64 v165, v[12:13] offset:16
	v_lshlrev_b32_e32 v166, 3, v10
	v_pk_add_f32 v[10:11], v[44:45], v[4:5]
	v_pk_add_f32 v[12:13], v[14:15], v[4:5]
	v_pk_add_f32 v[4:5], v[14:15], v[4:5] neg_lo:[0,1] neg_hi:[0,1]
	v_pk_fma_f32 v[0:1], v[12:13], 0.5, v[0:1] op_sel_hi:[1,0,1] neg_lo:[1,0,0] neg_hi:[1,0,0]
	v_pk_mul_f32 v[4:5], v[4:5], s[2:3] op_sel_hi:[1,0]
	v_pk_add_f32 v[46:47], v[2:3], v[8:9]
	v_pk_add_f32 v[12:13], v[0:1], v[4:5] op_sel:[0,1] op_sel_hi:[1,0]
	v_pk_add_f32 v[0:1], v[0:1], v[4:5] op_sel:[0,1] op_sel_hi:[1,0] neg_lo:[0,1] neg_hi:[0,1]
	v_mov_b32_e32 v4, v12
	v_mov_b32_e32 v5, v1
	ds_write2_b64 v166, v[10:11], v[4:5] offset1:1
	v_pk_add_f32 v[4:5], v[8:9], v[6:7]
	v_mov_b32_e32 v1, v13
	v_pk_fma_f32 v[2:3], v[4:5], 0.5, v[2:3] op_sel_hi:[1,0,1] neg_lo:[1,0,0] neg_hi:[1,0,0]
	v_pk_add_f32 v[4:5], v[8:9], v[6:7] neg_lo:[0,1] neg_hi:[0,1]
	ds_write_b64 v166, v[0:1] offset:16
	v_mul_u32_u24_e32 v0, 3, v68
	v_pk_mul_f32 v[4:5], v[4:5], s[2:3] op_sel_hi:[1,0]
	v_lshlrev_b32_e32 v167, 3, v0
	v_pk_add_f32 v[0:1], v[46:47], v[6:7]
	v_pk_add_f32 v[6:7], v[2:3], v[4:5] op_sel:[0,1] op_sel_hi:[1,0]
	v_pk_add_f32 v[2:3], v[2:3], v[4:5] op_sel:[0,1] op_sel_hi:[1,0] neg_lo:[0,1] neg_hi:[0,1]
	v_mov_b32_e32 v4, v6
	v_mov_b32_e32 v5, v3
	ds_write2_b64 v167, v[0:1], v[4:5] offset1:1
	v_mul_u32_u24_e32 v0, 3, v70
	v_mov_b32_e32 v3, v7
	v_lshlrev_b32_e32 v168, 3, v0
	v_mov_b32_e32 v0, v66
	v_mov_b32_e32 v1, v21
	ds_write_b64 v167, v[2:3] offset:16
	ds_write2_b64 v168, v[16:17], v[0:1] offset1:1
	v_mov_b32_e32 v0, v20
	v_mov_b32_e32 v1, v67
	v_mul_u32_u24_e32 v169, 3, v72
	ds_write_b64 v168, v[0:1] offset:16
	s_and_saveexec_b64 s[2:3], vcc
	s_cbranch_execz .LBB0_7
; %bb.6:
	v_lshlrev_b32_e32 v2, 3, v169
	v_mov_b32_e32 v0, v62
	v_mov_b32_e32 v1, v39
	ds_write2_b64 v2, v[18:19], v[0:1] offset1:1
	v_mov_b32_e32 v0, v38
	v_mov_b32_e32 v1, v63
	ds_write_b64 v2, v[0:1] offset:16
.LBB0_7:
	s_or_b64 exec, exec, s[2:3]
	v_add_u32_e32 v0, 0x800, v106
	s_waitcnt lgkmcnt(0)
	; wave barrier
	s_waitcnt lgkmcnt(0)
	ds_read2_b64 v[24:27], v106 offset1:54
	ds_read2_b64 v[56:59], v106 offset0:144 offset1:198
	ds_read2_b64 v[44:47], v0 offset0:32 offset1:86
	;; [unrolled: 1-line block ×3, first 2 shown]
	v_add_u32_e32 v0, 0x1000, v106
	ds_read2_b64 v[32:35], v0 offset0:64 offset1:118
	v_add_u32_e32 v0, 0x1400, v106
	s_load_dwordx2 s[4:5], s[0:1], 0x8
	ds_read2_b64 v[28:31], v0 offset0:80 offset1:134
	v_cmp_gt_u16_e64 s[0:1], 36, v126
	v_cmp_lt_u16_e64 s[2:3], 35, v126
	s_and_saveexec_b64 s[6:7], s[2:3]
	s_xor_b64 s[6:7], exec, s[6:7]
	s_andn2_saveexec_b64 s[6:7], s[6:7]
	s_cbranch_execz .LBB0_9
; %bb.8:
	v_add_u32_e32 v0, 0x1400, v106
	ds_read2_b64 v[36:39], v0 offset0:44 offset1:188
	ds_read2_b64 v[16:19], v106 offset0:108 offset1:252
	v_add_u32_e32 v0, 0xc00, v106
	ds_read2_b64 v[20:23], v0 offset0:12 offset1:156
	s_waitcnt lgkmcnt(0)
	v_mov_b32_e32 v62, v36
	v_mov_b32_e32 v63, v39
	;; [unrolled: 1-line block ×6, first 2 shown]
	v_mov_b64_e32 v[18:19], v[22:23]
.LBB0_9:
	s_or_b64 exec, exec, s[6:7]
	s_movk_i32 s7, 0xab
	v_mul_lo_u16_sdwa v0, v126, s7 dst_sel:DWORD dst_unused:UNUSED_PAD src0_sel:BYTE_0 src1_sel:DWORD
	v_lshrrev_b16_e32 v36, 9, v0
	v_mul_lo_u16_e32 v0, 3, v36
	v_sub_u16_e32 v0, v126, v0
	v_and_b32_e32 v37, 0xff, v0
	v_mul_lo_u16_sdwa v0, v64, s7 dst_sel:DWORD dst_unused:UNUSED_PAD src0_sel:BYTE_0 src1_sel:DWORD
	v_lshrrev_b16_e32 v61, 9, v0
	v_mul_lo_u16_e32 v0, 3, v61
	v_sub_u16_e32 v0, v64, v0
	v_and_b32_e32 v135, 0xff, v0
	s_waitcnt lgkmcnt(0)
	v_mad_u64_u32 v[8:9], s[16:17], v135, 40, s[4:5]
	v_mad_u64_u32 v[22:23], s[16:17], v37, 40, s[4:5]
	global_load_dwordx2 v[144:145], v[8:9], off offset:32
	global_load_dwordx4 v[0:3], v[8:9], off offset:16
	global_load_dwordx4 v[4:7], v[8:9], off
	global_load_dwordx4 v[12:15], v[22:23], off
	s_nop 0
	global_load_dwordx4 v[8:11], v[22:23], off offset:16
	global_load_dwordx2 v[146:147], v[22:23], off offset:32
	v_mul_lo_u16_sdwa v22, v60, s7 dst_sel:DWORD dst_unused:UNUSED_PAD src0_sel:BYTE_0 src1_sel:DWORD
	v_lshrrev_b16_e32 v65, 9, v22
	v_mul_lo_u16_e32 v22, 3, v65
	v_sub_u16_e32 v22, v60, v22
	v_and_b32_e32 v69, 0xff, v22
	v_mad_u64_u32 v[22:23], s[18:19], v69, 40, s[4:5]
	global_load_dwordx4 v[52:55], v[22:23], off
	global_load_dwordx2 v[150:151], v[22:23], off offset:32
	global_load_dwordx4 v[48:51], v[22:23], off offset:16
	v_mul_u32_u24_e32 v36, 18, v36
	v_add_lshl_u32 v185, v36, v37, 3
	s_mov_b32 s6, 0x3f5db3d7
	s_mov_b32 s16, 0.5
	s_waitcnt lgkmcnt(0)
	; wave barrier
	s_mov_b32 s17, s6
	v_mul_u32_u24_e32 v187, 18, v61
	s_waitcnt vmcnt(8)
	v_pk_mul_f32 v[22:23], v[62:63], v[144:145]
	s_nop 0
	v_mov_b32_e32 v22, v145
	s_waitcnt vmcnt(6)
	v_pk_mul_f32 v[36:37], v[66:67], v[6:7] op_sel:[1,0]
	v_pk_mul_f32 v[74:75], v[38:39], v[2:3] op_sel:[1,0]
	s_waitcnt vmcnt(5)
	v_pk_mul_f32 v[76:77], v[56:57], v[12:13] op_sel:[0,1]
	s_waitcnt vmcnt(4)
	;; [unrolled: 2-line block ×3, first 2 shown]
	v_pk_mul_f32 v[80:81], v[28:29], v[146:147] op_sel:[0,1]
	v_mov_b32_e32 v82, v15
	v_mov_b32_e32 v84, v11
	;; [unrolled: 1-line block ×3, first 2 shown]
	v_pk_mul_f32 v[88:89], v[38:39], v[22:23]
	v_pk_fma_f32 v[22:23], v[20:21], v[6:7], v[36:37] op_sel:[0,0,1] op_sel_hi:[1,1,0] neg_lo:[0,0,1] neg_hi:[0,0,1]
	v_pk_fma_f32 v[90:91], v[20:21], v[6:7], v[36:37] op_sel:[0,0,1] op_sel_hi:[0,1,0]
	v_pk_fma_f32 v[36:37], v[62:63], v[2:3], v[74:75] op_sel:[0,0,1] op_sel_hi:[1,1,0] neg_lo:[0,0,1] neg_hi:[0,0,1]
	v_pk_fma_f32 v[74:75], v[62:63], v[2:3], v[74:75] op_sel:[0,0,1] op_sel_hi:[0,1,0]
	;; [unrolled: 2-line block ×5, first 2 shown]
	v_pk_mul_f32 v[82:83], v[44:45], v[82:83] op_sel_hi:[1,0]
	v_pk_mul_f32 v[84:85], v[32:33], v[84:85] op_sel_hi:[1,0]
	v_pk_fma_f32 v[28:29], v[38:39], v[144:145], v[86:87] neg_lo:[0,0,1] neg_hi:[0,0,1]
	v_mov_b32_e32 v23, v91
	v_mov_b32_e32 v37, v75
	;; [unrolled: 1-line block ×5, first 2 shown]
	v_pk_fma_f32 v[38:39], v[44:45], v[14:15], v[82:83] op_sel:[0,0,1] op_sel_hi:[1,1,0] neg_lo:[0,0,1] neg_hi:[0,0,1]
	v_pk_fma_f32 v[40:41], v[44:45], v[14:15], v[82:83] op_sel:[0,0,1] op_sel_hi:[1,0,0]
	v_pk_fma_f32 v[44:45], v[32:33], v[10:11], v[84:85] op_sel:[0,0,1] op_sel_hi:[1,1,0] neg_lo:[0,0,1] neg_hi:[0,0,1]
	v_pk_fma_f32 v[32:33], v[32:33], v[10:11], v[84:85] op_sel:[0,0,1] op_sel_hi:[1,0,0]
	v_mov_b32_e32 v39, v41
	v_mov_b32_e32 v45, v33
	v_pk_add_f32 v[32:33], v[92:93], v[76:77]
	v_pk_add_f32 v[40:41], v[76:77], v[78:79]
	v_pk_add_f32 v[74:75], v[22:23], v[36:37] neg_lo:[0,1] neg_hi:[0,1]
	v_pk_add_f32 v[56:57], v[76:77], v[78:79] neg_lo:[0,1] neg_hi:[0,1]
	v_pk_add_f32 v[76:77], v[32:33], v[78:79]
	v_pk_fma_f32 v[32:33], v[40:41], 0.5, v[92:93] op_sel_hi:[1,0,1] neg_lo:[1,0,0] neg_hi:[1,0,0]
	v_pk_mul_f32 v[74:75], v[74:75], s[6:7] op_sel_hi:[1,0]
	s_mov_b32 s7, s16
	v_pk_add_f32 v[40:41], v[24:25], v[38:39]
	v_pk_add_f32 v[78:79], v[38:39], v[44:45]
	v_pk_add_f32 v[38:39], v[38:39], v[44:45] neg_lo:[0,1] neg_hi:[0,1]
	v_pk_fma_f32 v[80:81], v[56:57], s[6:7], v[32:33] op_sel:[0,0,1] op_sel_hi:[1,0,0]
	v_pk_fma_f32 v[56:57], v[56:57], s[6:7], v[32:33] op_sel:[0,0,1] op_sel_hi:[1,0,0] neg_lo:[1,0,0] neg_hi:[1,0,0]
	v_pk_fma_f32 v[24:25], v[78:79], 0.5, v[24:25] op_sel_hi:[1,0,1] neg_lo:[1,0,0] neg_hi:[1,0,0]
	v_pk_mul_f32 v[32:33], v[38:39], s[6:7] op_sel_hi:[1,0]
	v_mul_f32_e32 v71, 0x3f5db3d7, v56
	v_mul_f32_e32 v84, 0xbf5db3d7, v81
	v_pk_add_f32 v[44:45], v[40:41], v[44:45]
	v_pk_add_f32 v[78:79], v[32:33], v[24:25] op_sel:[1,0] op_sel_hi:[0,1]
	v_pk_add_f32 v[82:83], v[24:25], v[32:33] op_sel:[0,1] op_sel_hi:[1,0] neg_lo:[0,1] neg_hi:[0,1]
	v_fmac_f32_e32 v71, 0.5, v81
	v_fmac_f32_e32 v84, 0.5, v56
	v_add_f32_e32 v24, v78, v71
	v_add_f32_e32 v25, v83, v84
	v_pk_add_f32 v[32:33], v[44:45], v[76:77]
	ds_write2_b64 v185, v[32:33], v[24:25] offset1:3
	v_pk_mul_f32 v[24:25], v[20:21], v[4:5]
	v_mov_b32_e32 v32, v1
	v_mov_b32_e32 v24, v5
	;; [unrolled: 1-line block ×3, first 2 shown]
	v_pk_mul_f32 v[40:41], v[66:67], v[24:25]
	v_pk_mul_f32 v[24:25], v[18:19], v[0:1]
	;; [unrolled: 1-line block ×3, first 2 shown]
	v_mov_b32_e32 v24, v25
	v_pk_fma_f32 v[24:25], v[18:19], v[0:1], v[24:25] neg_lo:[0,0,1] neg_hi:[0,0,1]
	v_mov_b32_e32 v18, v19
	v_mov_b32_e32 v38, v21
	v_pk_fma_f32 v[18:19], v[18:19], v[0:1], v[32:33]
	v_mov_b32_e32 v32, v63
	v_pk_fma_f32 v[32:33], v[32:33], v[144:145], v[88:89]
	v_pk_mul_f32 v[38:39], v[38:39], v[4:5]
	v_mov_b32_e32 v41, v32
	v_mov_b32_e32 v39, v18
	v_pk_fma_f32 v[20:21], v[66:67], v[4:5], v[20:21] neg_lo:[0,0,1] neg_hi:[0,0,1]
	v_pk_add_f32 v[40:41], v[38:39], v[40:41]
	v_add_f32_e32 v38, v24, v28
	v_fma_f32 v88, -0.5, v38, v20
	v_sub_f32_e32 v89, v18, v32
	v_fmamk_f32 v38, v89, 0x3f5db3d7, v88
	v_fma_f32 v90, -0.5, v41, v40
	v_sub_f32_e32 v91, v24, v28
	v_pk_mul_f32 v[62:63], v[38:39], s[16:17] op_sel_hi:[0,1]
	v_fmamk_f32 v56, v91, 0xbf5db3d7, v90
	v_pk_fma_f32 v[38:39], v[56:57], s[6:7], v[62:63]
	v_pk_fma_f32 v[62:63], v[56:57], s[6:7], v[62:63] op_sel_hi:[0,1,1] neg_lo:[0,0,1] neg_hi:[0,0,1]
	v_mov_b32_e32 v56, v80
	s_mov_b32 s7, 0xbf5db3d7
	v_pk_mul_f32 v[66:67], v[56:57], 0.5 op_sel_hi:[1,0]
	v_pk_add_f32 v[44:45], v[44:45], v[76:77] neg_lo:[0,1] neg_hi:[0,1]
	v_pk_fma_f32 v[56:57], v[56:57], s[6:7], v[66:67] op_sel:[0,0,1] op_sel_hi:[1,1,0] neg_lo:[0,0,1] neg_hi:[0,0,1]
	v_mov_b32_e32 v66, v82
	v_mov_b32_e32 v67, v79
	v_pk_add_f32 v[76:77], v[66:67], v[56:57]
	ds_write2_b64 v185, v[76:77], v[44:45] offset0:6 offset1:9
	v_sub_f32_e32 v44, v78, v71
	v_sub_f32_e32 v45, v83, v84
	v_pk_add_f32 v[56:57], v[66:67], v[56:57] neg_lo:[0,1] neg_hi:[0,1]
	ds_write2_b64 v185, v[44:45], v[56:57] offset0:12 offset1:15
	s_waitcnt vmcnt(2)
	v_pk_mul_f32 v[44:45], v[58:59], v[52:53] op_sel:[0,1]
	v_mov_b32_e32 v39, v63
	v_pk_fma_f32 v[56:57], v[58:59], v[52:53], v[44:45] op_sel:[0,0,1] op_sel_hi:[1,1,0] neg_lo:[0,0,1] neg_hi:[0,0,1]
	v_pk_fma_f32 v[58:59], v[58:59], v[52:53], v[44:45] op_sel:[0,0,1] op_sel_hi:[1,0,0]
	v_mov_b32_e32 v44, v55
	v_pk_mul_f32 v[44:45], v[46:47], v[44:45] op_sel_hi:[1,0]
	v_mov_b32_e32 v57, v59
	v_pk_fma_f32 v[66:67], v[46:47], v[54:55], v[44:45] op_sel:[0,0,1] op_sel_hi:[1,1,0] neg_lo:[0,0,1] neg_hi:[0,0,1]
	v_pk_fma_f32 v[46:47], v[46:47], v[54:55], v[44:45] op_sel:[0,0,1] op_sel_hi:[1,0,0]
	s_waitcnt vmcnt(0)
	v_pk_mul_f32 v[44:45], v[42:43], v[48:49] op_sel:[0,1]
	v_mov_b32_e32 v67, v47
	v_pk_fma_f32 v[76:77], v[42:43], v[48:49], v[44:45] op_sel:[0,0,1] op_sel_hi:[1,1,0] neg_lo:[0,0,1] neg_hi:[0,0,1]
	v_pk_fma_f32 v[78:79], v[42:43], v[48:49], v[44:45] op_sel:[0,0,1] op_sel_hi:[1,0,0]
	v_mov_b32_e32 v42, v51
	v_pk_mul_f32 v[42:43], v[34:35], v[42:43] op_sel_hi:[1,0]
	v_mov_b32_e32 v77, v79
	v_pk_fma_f32 v[80:81], v[34:35], v[50:51], v[42:43] op_sel:[0,0,1] op_sel_hi:[1,1,0] neg_lo:[0,0,1] neg_hi:[0,0,1]
	v_pk_fma_f32 v[82:83], v[34:35], v[50:51], v[42:43] op_sel:[0,0,1] op_sel_hi:[1,0,0]
	v_pk_mul_f32 v[34:35], v[30:31], v[150:151] op_sel:[0,1]
	v_mov_b32_e32 v81, v83
	v_pk_fma_f32 v[84:85], v[30:31], v[150:151], v[34:35] op_sel:[0,0,1] op_sel_hi:[1,1,0] neg_lo:[0,0,1] neg_hi:[0,0,1]
	v_pk_fma_f32 v[86:87], v[30:31], v[150:151], v[34:35] op_sel:[0,0,1] op_sel_hi:[1,0,0]
	v_pk_add_f32 v[58:59], v[66:67], v[80:81]
	v_pk_add_f32 v[62:63], v[66:67], v[80:81] neg_lo:[0,1] neg_hi:[0,1]
	v_mov_b32_e32 v85, v87
	v_pk_add_f32 v[46:47], v[26:27], v[66:67]
	v_pk_fma_f32 v[26:27], v[58:59], 0.5, v[26:27] op_sel_hi:[1,0,1] neg_lo:[1,0,0] neg_hi:[1,0,0]
	v_pk_mul_f32 v[62:63], v[62:63], s[6:7] op_sel_hi:[1,0]
	v_pk_add_f32 v[30:31], v[22:23], v[36:37]
	v_pk_add_f32 v[66:67], v[62:63], v[26:27] op_sel:[1,0] op_sel_hi:[0,1]
	v_pk_add_f32 v[26:27], v[26:27], v[62:63] op_sel:[0,1] op_sel_hi:[1,0] neg_lo:[0,1] neg_hi:[0,1]
	v_pk_add_f32 v[62:63], v[76:77], v[84:85]
	v_pk_fma_f32 v[34:35], v[30:31], 0.5, v[16:17] op_sel_hi:[1,0,1] neg_lo:[1,0,0] neg_hi:[1,0,0]
	v_pk_add_f32 v[58:59], v[56:57], v[76:77]
	v_pk_fma_f32 v[56:57], v[62:63], 0.5, v[56:57] op_sel_hi:[1,0,1] neg_lo:[1,0,0] neg_hi:[1,0,0]
	v_pk_add_f32 v[62:63], v[76:77], v[84:85] neg_lo:[0,1] neg_hi:[0,1]
	v_pk_add_f32 v[30:31], v[34:35], v[74:75] op_sel:[0,1] op_sel_hi:[1,0] neg_lo:[0,1] neg_hi:[0,1]
	v_pk_add_f32 v[34:35], v[34:35], v[74:75] op_sel:[0,1] op_sel_hi:[1,0]
	v_mul_u32_u24_e32 v42, 18, v65
	v_pk_fma_f32 v[74:75], v[62:63], s[6:7], v[56:57] op_sel:[0,0,1] op_sel_hi:[1,0,0]
	v_add_lshl_u32 v186, v42, v69, 3
	v_mov_b32_e32 v42, v34
	v_pk_fma_f32 v[56:57], v[62:63], s[6:7], v[56:57] op_sel:[0,0,1] op_sel_hi:[1,0,0] neg_lo:[1,0,0] neg_hi:[1,0,0]
	v_mul_f32_e32 v34, 0xbf5db3d7, v75
	v_mov_b32_e32 v43, v31
	v_mul_f32_e32 v31, 0x3f5db3d7, v56
	v_fmac_f32_e32 v34, 0.5, v56
	v_mov_b32_e32 v56, v74
	v_fmac_f32_e32 v88, 0xbf5db3d7, v89
	v_fmac_f32_e32 v90, 0x3f5db3d7, v91
	v_pk_add_f32 v[46:47], v[46:47], v[80:81]
	v_pk_add_f32 v[58:59], v[58:59], v[84:85]
	v_fmac_f32_e32 v31, 0.5, v75
	v_pk_mul_f32 v[74:75], v[56:57], 0.5 op_sel_hi:[1,0]
	v_mul_f32_e32 v44, -0.5, v88
	v_mul_f32_e32 v45, -0.5, v90
	v_add_f32_e32 v62, v66, v31
	v_add_f32_e32 v63, v27, v34
	v_sub_f32_e32 v76, v66, v31
	v_sub_f32_e32 v77, v27, v34
	v_mov_b32_e32 v66, v26
	v_pk_add_f32 v[26:27], v[46:47], v[58:59]
	v_pk_fma_f32 v[56:57], v[56:57], s[6:7], v[74:75] op_sel:[0,0,1] op_sel_hi:[1,1,0] neg_lo:[0,0,1] neg_hi:[0,0,1]
	v_fmac_f32_e32 v44, 0x3f5db3d7, v90
	v_fmac_f32_e32 v45, 0xbf5db3d7, v88
	v_pk_add_f32 v[74:75], v[66:67], v[56:57]
	ds_write2_b64 v186, v[26:27], v[62:63] offset1:3
	v_pk_add_f32 v[26:27], v[46:47], v[58:59] neg_lo:[0,1] neg_hi:[0,1]
	v_sub_f32_e32 v104, v30, v44
	v_pk_add_f32 v[152:153], v[42:43], v[38:39] neg_lo:[0,1] neg_hi:[0,1]
	v_sub_f32_e32 v154, v35, v45
	ds_write2_b64 v186, v[74:75], v[26:27] offset0:6 offset1:9
	v_pk_add_f32 v[26:27], v[66:67], v[56:57] neg_lo:[0,1] neg_hi:[0,1]
	ds_write2_b64 v186, v[76:77], v[26:27] offset0:12 offset1:15
	s_and_saveexec_b64 s[6:7], s[0:1]
	s_cbranch_execz .LBB0_11
; %bb.10:
	v_pk_add_f32 v[16:17], v[16:17], v[22:23]
	v_pk_add_f32 v[18:19], v[40:41], v[18:19]
	;; [unrolled: 1-line block ×4, first 2 shown]
	v_mov_b32_e32 v22, v17
	v_pk_add_f32 v[20:21], v[20:21], v[24:25]
	v_pk_add_f32 v[26:27], v[22:23], v[18:19] neg_lo:[0,1] neg_hi:[0,1]
	v_pk_add_f32 v[20:21], v[20:21], v[28:29]
	v_add_f32_e32 v23, v35, v45
	v_pk_add_f32 v[24:25], v[16:17], v[20:21] neg_lo:[0,1] neg_hi:[0,1]
	v_pk_add_f32 v[18:19], v[22:23], v[18:19]
	v_pk_add_f32 v[16:17], v[16:17], v[20:21]
	v_add_f32_e32 v22, v30, v44
	v_add_lshl_u32 v20, v187, v135, 3
	v_mov_b32_e32 v17, v18
	v_pk_add_f32 v[18:19], v[42:43], v[38:39]
	v_mov_b32_e32 v25, v26
	v_mov_b32_e32 v105, v154
	ds_write2_b64 v20, v[16:17], v[18:19] offset1:3
	ds_write2_b64 v20, v[22:23], v[24:25] offset0:6 offset1:9
	ds_write2_b64 v20, v[152:153], v[104:105] offset0:12 offset1:15
.LBB0_11:
	s_or_b64 exec, exec, s[6:7]
	v_mov_b32_e32 v16, 57
	v_mul_lo_u16_sdwa v16, v126, v16 dst_sel:DWORD dst_unused:UNUSED_PAD src0_sel:BYTE_0 src1_sel:DWORD
	v_lshrrev_b16_e32 v46, 10, v16
	v_mul_lo_u16_e32 v16, 18, v46
	v_sub_u16_e32 v16, v126, v16
	v_and_b32_e32 v47, 0xff, v16
	s_movk_i32 s6, 0x78
	v_mov_b64_e32 v[16:17], s[4:5]
	v_mad_u64_u32 v[44:45], s[6:7], v47, s6, v[16:17]
	s_waitcnt lgkmcnt(0)
	; wave barrier
	s_waitcnt lgkmcnt(0)
	global_load_dwordx4 v[16:19], v[44:45], off offset:168
	global_load_dwordx4 v[36:39], v[44:45], off offset:152
	;; [unrolled: 1-line block ×4, first 2 shown]
	global_load_dwordx2 v[148:149], v[44:45], off offset:232
	global_load_dwordx4 v[28:31], v[44:45], off offset:216
	global_load_dwordx4 v[32:35], v[44:45], off offset:184
	;; [unrolled: 1-line block ×3, first 2 shown]
	v_mul_u32_u24_e32 v44, 0x120, v46
	v_or_b32_e32 v44, v44, v47
	v_lshlrev_b32_e32 v184, 3, v44
	ds_read2_b64 v[44:47], v106 offset1:54
	ds_read2_b64 v[56:59], v106 offset0:108 offset1:162
	v_add_u32_e32 v61, 0x400, v106
	ds_read2_b64 v[74:77], v61 offset0:88 offset1:142
	v_add_u32_e32 v161, 0x800, v106
	ds_read2_b64 v[78:81], v161 offset0:68 offset1:122
	ds_read2_b64 v[82:85], v161 offset0:176 offset1:230
	v_add_u32_e32 v163, 0x1000, v106
	ds_read2_b64 v[86:89], v163 offset0:28 offset1:82
	;; [unrolled: 3-line block ×3, first 2 shown]
	s_mov_b32 s6, 0x3f3504f3
	s_mov_b32 s16, 0x3f6c835e
	;; [unrolled: 1-line block ×3, first 2 shown]
	s_waitcnt lgkmcnt(0)
	; wave barrier
	s_waitcnt vmcnt(4) lgkmcnt(0)
	v_pk_mul_f32 v[62:63], v[46:47], v[40:41] op_sel:[0,1]
	s_nop 0
	v_pk_fma_f32 v[66:67], v[46:47], v[40:41], v[62:63] op_sel:[0,0,1] op_sel_hi:[1,1,0] neg_lo:[0,0,1] neg_hi:[0,0,1]
	v_pk_fma_f32 v[46:47], v[46:47], v[40:41], v[62:63] op_sel:[0,0,1] op_sel_hi:[1,0,0]
	s_nop 0
	v_mov_b32_e32 v46, v43
	v_mov_b32_e32 v67, v47
	v_pk_mul_f32 v[46:47], v[56:57], v[46:47] op_sel_hi:[1,0]
	s_nop 0
	v_pk_fma_f32 v[62:63], v[56:57], v[42:43], v[46:47] op_sel:[0,0,1] op_sel_hi:[1,1,0] neg_lo:[0,0,1] neg_hi:[0,0,1]
	v_pk_fma_f32 v[46:47], v[56:57], v[42:43], v[46:47] op_sel:[0,0,1] op_sel_hi:[1,0,0]
	s_nop 0
	v_mov_b32_e32 v63, v47
	v_pk_mul_f32 v[46:47], v[58:59], v[20:21] op_sel:[0,1]
	s_nop 0
	v_pk_fma_f32 v[56:57], v[58:59], v[20:21], v[46:47] op_sel:[0,0,1] op_sel_hi:[1,1,0] neg_lo:[0,0,1] neg_hi:[0,0,1]
	v_pk_fma_f32 v[46:47], v[58:59], v[20:21], v[46:47] op_sel:[0,0,1] op_sel_hi:[1,0,0]
	s_nop 0
	v_mov_b32_e32 v46, v23
	v_mov_b32_e32 v57, v47
	v_pk_mul_f32 v[46:47], v[74:75], v[46:47] op_sel_hi:[1,0]
	s_nop 0
	v_pk_fma_f32 v[58:59], v[74:75], v[22:23], v[46:47] op_sel:[0,0,1] op_sel_hi:[1,1,0] neg_lo:[0,0,1] neg_hi:[0,0,1]
	v_pk_fma_f32 v[46:47], v[74:75], v[22:23], v[46:47] op_sel:[0,0,1] op_sel_hi:[1,0,0]
	s_nop 0
	v_mov_b32_e32 v59, v47
	;; [unrolled: 13-line block ×4, first 2 shown]
	s_waitcnt vmcnt(1)
	v_pk_mul_f32 v[46:47], v[84:85], v[32:33] op_sel:[0,1]
	s_nop 0
	v_pk_fma_f32 v[82:83], v[84:85], v[32:33], v[46:47] op_sel:[0,0,1] op_sel_hi:[1,1,0] neg_lo:[0,0,1] neg_hi:[0,0,1]
	v_pk_fma_f32 v[46:47], v[84:85], v[32:33], v[46:47] op_sel:[0,0,1] op_sel_hi:[1,0,0]
	s_nop 0
	v_mov_b32_e32 v46, v35
	v_mov_b32_e32 v83, v47
	v_pk_mul_f32 v[46:47], v[86:87], v[46:47] op_sel_hi:[1,0]
	v_pk_add_f32 v[82:83], v[66:67], v[82:83] neg_lo:[0,1] neg_hi:[0,1]
	v_pk_fma_f32 v[84:85], v[86:87], v[34:35], v[46:47] op_sel:[0,0,1] op_sel_hi:[1,1,0] neg_lo:[0,0,1] neg_hi:[0,0,1]
	v_pk_fma_f32 v[46:47], v[86:87], v[34:35], v[46:47] op_sel:[0,0,1] op_sel_hi:[1,0,0]
	v_pk_fma_f32 v[66:67], v[66:67], 2.0, v[82:83] op_sel_hi:[1,0,1] neg_lo:[0,0,1] neg_hi:[0,0,1]
	v_mov_b32_e32 v85, v47
	s_waitcnt vmcnt(0)
	v_pk_mul_f32 v[46:47], v[88:89], v[24:25] op_sel:[0,1]
	v_pk_add_f32 v[84:85], v[62:63], v[84:85] neg_lo:[0,1] neg_hi:[0,1]
	v_pk_fma_f32 v[86:87], v[88:89], v[24:25], v[46:47] op_sel:[0,0,1] op_sel_hi:[1,1,0] neg_lo:[0,0,1] neg_hi:[0,0,1]
	v_pk_fma_f32 v[46:47], v[88:89], v[24:25], v[46:47] op_sel:[0,0,1] op_sel_hi:[1,0,0]
	v_pk_fma_f32 v[62:63], v[62:63], 2.0, v[84:85] op_sel_hi:[1,0,1] neg_lo:[0,0,1] neg_hi:[0,0,1]
	v_mov_b32_e32 v46, v27
	v_mov_b32_e32 v87, v47
	v_pk_mul_f32 v[46:47], v[90:91], v[46:47] op_sel_hi:[1,0]
	v_pk_add_f32 v[86:87], v[56:57], v[86:87] neg_lo:[0,1] neg_hi:[0,1]
	v_pk_fma_f32 v[88:89], v[90:91], v[26:27], v[46:47] op_sel:[0,0,1] op_sel_hi:[1,1,0] neg_lo:[0,0,1] neg_hi:[0,0,1]
	v_pk_fma_f32 v[46:47], v[90:91], v[26:27], v[46:47] op_sel:[0,0,1] op_sel_hi:[1,0,0]
	v_pk_fma_f32 v[56:57], v[56:57], 2.0, v[86:87] op_sel_hi:[1,0,1] neg_lo:[0,0,1] neg_hi:[0,0,1]
	v_mov_b32_e32 v89, v47
	v_pk_mul_f32 v[46:47], v[92:93], v[28:29] op_sel:[0,1]
	s_nop 0
	v_pk_fma_f32 v[90:91], v[92:93], v[28:29], v[46:47] op_sel:[0,0,1] op_sel_hi:[1,1,0] neg_lo:[0,0,1] neg_hi:[0,0,1]
	v_pk_fma_f32 v[46:47], v[92:93], v[28:29], v[46:47] op_sel:[0,0,1] op_sel_hi:[1,0,0]
	s_nop 0
	v_mov_b32_e32 v46, v31
	v_mov_b32_e32 v91, v47
	v_pk_mul_f32 v[46:47], v[94:95], v[46:47] op_sel_hi:[1,0]
	v_pk_add_f32 v[90:91], v[74:75], v[90:91] neg_lo:[0,1] neg_hi:[0,1]
	v_pk_fma_f32 v[92:93], v[94:95], v[30:31], v[46:47] op_sel:[0,0,1] op_sel_hi:[1,1,0] neg_lo:[0,0,1] neg_hi:[0,0,1]
	v_pk_fma_f32 v[46:47], v[94:95], v[30:31], v[46:47] op_sel:[0,0,1] op_sel_hi:[1,0,0]
	v_pk_fma_f32 v[74:75], v[74:75], 2.0, v[90:91] op_sel_hi:[1,0,1] neg_lo:[0,0,1] neg_hi:[0,0,1]
	v_mov_b32_e32 v93, v47
	v_pk_mul_f32 v[46:47], v[96:97], v[148:149] op_sel:[0,1]
	s_nop 0
	v_pk_fma_f32 v[94:95], v[96:97], v[148:149], v[46:47] op_sel:[0,0,1] op_sel_hi:[1,1,0] neg_lo:[0,0,1] neg_hi:[0,0,1]
	v_pk_fma_f32 v[46:47], v[96:97], v[148:149], v[46:47] op_sel:[0,0,1] op_sel_hi:[1,0,0]
	s_nop 0
	v_mov_b32_e32 v95, v47
	v_pk_add_f32 v[46:47], v[44:45], v[80:81] neg_lo:[0,1] neg_hi:[0,1]
	v_pk_add_f32 v[80:81], v[58:59], v[88:89] neg_lo:[0,1] neg_hi:[0,1]
	;; [unrolled: 1-line block ×3, first 2 shown]
	v_pk_fma_f32 v[58:59], v[58:59], 2.0, v[80:81] op_sel_hi:[1,0,1] neg_lo:[0,0,1] neg_hi:[0,0,1]
	v_pk_fma_f32 v[76:77], v[76:77], 2.0, v[88:89] op_sel_hi:[1,0,1] neg_lo:[0,0,1] neg_hi:[0,0,1]
	v_pk_add_f32 v[92:93], v[78:79], v[94:95] neg_lo:[0,1] neg_hi:[0,1]
	v_pk_add_f32 v[94:95], v[66:67], v[74:75] neg_lo:[0,1] neg_hi:[0,1]
	v_pk_add_f32 v[74:75], v[46:47], v[80:81] op_sel:[0,1] op_sel_hi:[1,0] neg_lo:[0,1] neg_hi:[0,1]
	v_pk_add_f32 v[80:81], v[46:47], v[80:81] op_sel:[0,1] op_sel_hi:[1,0]
	v_pk_add_f32 v[96:97], v[84:85], v[88:89] op_sel:[0,1] op_sel_hi:[1,0] neg_lo:[0,1] neg_hi:[0,1]
	v_pk_add_f32 v[88:89], v[84:85], v[88:89] op_sel:[0,1] op_sel_hi:[1,0]
	v_pk_fma_f32 v[78:79], v[78:79], 2.0, v[92:93] op_sel_hi:[1,0,1] neg_lo:[0,0,1] neg_hi:[0,0,1]
	v_mov_b32_e32 v75, v81
	v_mov_b32_e32 v97, v89
	v_pk_add_f32 v[88:89], v[82:83], v[90:91] op_sel:[0,1] op_sel_hi:[1,0] neg_lo:[0,1] neg_hi:[0,1]
	v_pk_add_f32 v[90:91], v[82:83], v[90:91] op_sel:[0,1] op_sel_hi:[1,0]
	v_pk_add_f32 v[98:99], v[86:87], v[92:93] op_sel:[0,1] op_sel_hi:[1,0] neg_lo:[0,1] neg_hi:[0,1]
	v_pk_add_f32 v[92:93], v[86:87], v[92:93] op_sel:[0,1] op_sel_hi:[1,0]
	v_pk_fma_f32 v[44:45], v[44:45], 2.0, v[46:47] op_sel_hi:[1,0,1] neg_lo:[0,0,1] neg_hi:[0,0,1]
	v_pk_fma_f32 v[46:47], v[46:47], 2.0, v[74:75] op_sel_hi:[1,0,1] neg_lo:[0,0,1] neg_hi:[0,0,1]
	;; [unrolled: 1-line block ×3, first 2 shown]
	v_mov_b32_e32 v89, v91
	v_mov_b32_e32 v99, v93
	v_pk_fma_f32 v[82:83], v[82:83], 2.0, v[88:89] op_sel_hi:[1,0,1] neg_lo:[0,0,1] neg_hi:[0,0,1]
	v_pk_fma_f32 v[86:87], v[86:87], 2.0, v[98:99] op_sel_hi:[1,0,1] neg_lo:[0,0,1] neg_hi:[0,0,1]
	v_pk_mul_f32 v[92:93], v[84:85], s[6:7] op_sel_hi:[1,0]
	v_pk_fma_f32 v[84:85], v[84:85], s[6:7], v[46:47] op_sel_hi:[1,0,1] neg_lo:[1,0,0] neg_hi:[1,0,0]
	v_pk_add_f32 v[58:59], v[44:45], v[58:59] neg_lo:[0,1] neg_hi:[0,1]
	v_pk_add_f32 v[100:101], v[84:85], v[92:93] op_sel:[0,1] op_sel_hi:[1,0] neg_lo:[0,1] neg_hi:[0,1]
	v_pk_add_f32 v[84:85], v[84:85], v[92:93] op_sel:[0,1] op_sel_hi:[1,0]
	v_pk_mul_f32 v[92:93], v[86:87], s[6:7] op_sel_hi:[1,0]
	v_pk_fma_f32 v[86:87], v[86:87], s[6:7], v[82:83] op_sel_hi:[1,0,1] neg_lo:[1,0,0] neg_hi:[1,0,0]
	v_pk_add_f32 v[76:77], v[62:63], v[76:77] neg_lo:[0,1] neg_hi:[0,1]
	v_pk_add_f32 v[102:103], v[86:87], v[92:93] op_sel:[0,1] op_sel_hi:[1,0] neg_lo:[0,1] neg_hi:[0,1]
	v_pk_add_f32 v[86:87], v[86:87], v[92:93] op_sel:[0,1] op_sel_hi:[1,0]
	v_pk_add_f32 v[78:79], v[56:57], v[78:79] neg_lo:[0,1] neg_hi:[0,1]
	v_mov_b32_e32 v101, v85
	v_mov_b32_e32 v103, v87
	v_pk_fma_f32 v[44:45], v[44:45], 2.0, v[58:59] op_sel_hi:[1,0,1] neg_lo:[0,0,1] neg_hi:[0,0,1]
	v_pk_fma_f32 v[62:63], v[62:63], 2.0, v[76:77] op_sel_hi:[1,0,1] neg_lo:[0,0,1] neg_hi:[0,0,1]
	;; [unrolled: 1-line block ×6, first 2 shown]
	v_pk_add_f32 v[62:63], v[44:45], v[62:63] neg_lo:[0,1] neg_hi:[0,1]
	v_pk_add_f32 v[56:57], v[66:67], v[56:57] neg_lo:[0,1] neg_hi:[0,1]
	v_pk_fma_f32 v[92:93], v[82:83], s[16:17], v[46:47] op_sel_hi:[1,0,1] neg_lo:[1,0,0] neg_hi:[1,0,0]
	v_pk_mul_f32 v[82:83], v[82:83], s[18:19] op_sel_hi:[1,0]
	v_pk_fma_f32 v[44:45], v[44:45], 2.0, v[62:63] op_sel_hi:[1,0,1] neg_lo:[0,0,1] neg_hi:[0,0,1]
	v_pk_fma_f32 v[66:67], v[66:67], 2.0, v[56:57] op_sel_hi:[1,0,1] neg_lo:[0,0,1] neg_hi:[0,0,1]
	v_pk_add_f32 v[158:159], v[92:93], v[82:83] op_sel:[0,1] op_sel_hi:[1,0] neg_lo:[0,1] neg_hi:[0,1]
	v_pk_add_f32 v[82:83], v[92:93], v[82:83] op_sel:[0,1] op_sel_hi:[1,0]
	v_pk_add_f32 v[66:67], v[44:45], v[66:67] neg_lo:[0,1] neg_hi:[0,1]
	v_mov_b32_e32 v159, v83
	v_fmamk_f32 v82, v102, 0x3ec3ef15, v100
	v_pk_fma_f32 v[44:45], v[44:45], 2.0, v[66:67] op_sel_hi:[1,0,1] neg_lo:[0,0,1] neg_hi:[0,0,1]
	v_pk_fma_f32 v[46:47], v[46:47], 2.0, v[158:159] op_sel_hi:[1,0,1] neg_lo:[0,0,1] neg_hi:[0,0,1]
	v_fmamk_f32 v83, v87, 0x3ec3ef15, v85
	v_fmac_f32_e32 v82, 0xbf6c835e, v87
	v_pk_mul_f32 v[86:87], v[96:97], s[6:7] op_sel_hi:[1,0]
	v_pk_fma_f32 v[92:93], v[96:97], s[6:7], v[74:75] op_sel_hi:[1,0,1]
	ds_write2_b64 v184, v[44:45], v[46:47] offset1:18
	v_pk_add_f32 v[96:97], v[92:93], v[86:87] op_sel:[0,1] op_sel_hi:[1,0] neg_lo:[0,1] neg_hi:[0,1]
	v_pk_add_f32 v[86:87], v[92:93], v[86:87] op_sel:[0,1] op_sel_hi:[1,0]
	v_pk_add_f32 v[44:45], v[58:59], v[76:77] op_sel:[0,1] op_sel_hi:[1,0] neg_lo:[0,1] neg_hi:[0,1]
	v_pk_add_f32 v[46:47], v[58:59], v[76:77] op_sel:[0,1] op_sel_hi:[1,0]
	v_fma_f32 v65, v74, 2.0, -v96
	v_fma_f32 v69, v81, 2.0, -v87
	v_pk_mul_f32 v[74:75], v[98:99], s[6:7] op_sel_hi:[1,0]
	v_pk_fma_f32 v[80:81], v[98:99], s[6:7], v[88:89] op_sel_hi:[1,0,1]
	v_mov_b32_e32 v45, v47
	v_mov_b32_e32 v97, v87
	v_pk_add_f32 v[86:87], v[80:81], v[74:75] op_sel:[0,1] op_sel_hi:[1,0] neg_lo:[0,1] neg_hi:[0,1]
	v_pk_fma_f32 v[46:47], v[58:59], 2.0, v[44:45] op_sel_hi:[1,0,1] neg_lo:[0,0,1] neg_hi:[0,0,1]
	v_pk_add_f32 v[58:59], v[94:95], v[78:79] op_sel:[0,1] op_sel_hi:[1,0] neg_lo:[0,1] neg_hi:[0,1]
	v_pk_add_f32 v[76:77], v[94:95], v[78:79] op_sel:[0,1] op_sel_hi:[1,0]
	v_pk_add_f32 v[74:75], v[80:81], v[74:75] op_sel:[0,1] op_sel_hi:[1,0]
	v_fma_f32 v71, v88, 2.0, -v86
	v_mov_b32_e32 v59, v77
	v_mov_b32_e32 v87, v75
	v_fma_f32 v74, v91, 2.0, -v75
	v_fmamk_f32 v80, v71, 0xbec3ef15, v65
	v_pk_fma_f32 v[76:77], v[94:95], 2.0, v[58:59] op_sel_hi:[1,0,1] neg_lo:[0,0,1] neg_hi:[0,0,1]
	v_fmamk_f32 v81, v74, 0xbec3ef15, v69
	v_fmac_f32_e32 v80, 0xbf6c835e, v74
	v_pk_fma_f32 v[74:75], v[86:87], s[16:17], v[96:97] op_sel_hi:[1,0,1]
	v_pk_mul_f32 v[86:87], v[86:87], s[18:19] op_sel_hi:[1,0]
	v_pk_mul_f32 v[78:79], v[76:77], s[6:7] op_sel_hi:[1,0]
	v_pk_fma_f32 v[76:77], v[76:77], s[6:7], v[46:47] op_sel_hi:[1,0,1] neg_lo:[1,0,0] neg_hi:[1,0,0]
	v_pk_add_f32 v[156:157], v[74:75], v[86:87] op_sel:[0,1] op_sel_hi:[1,0] neg_lo:[0,1] neg_hi:[0,1]
	v_pk_add_f32 v[74:75], v[74:75], v[86:87] op_sel:[0,1] op_sel_hi:[1,0]
	v_pk_add_f32 v[86:87], v[76:77], v[78:79] op_sel:[0,1] op_sel_hi:[1,0] neg_lo:[0,1] neg_hi:[0,1]
	v_pk_add_f32 v[76:77], v[76:77], v[78:79] op_sel:[0,1] op_sel_hi:[1,0]
	v_fmac_f32_e32 v81, 0x3f6c835e, v71
	v_mov_b32_e32 v87, v77
	v_fma_f32 v88, v65, 2.0, -v80
	v_fma_f32 v89, v69, 2.0, -v81
	v_pk_fma_f32 v[46:47], v[46:47], 2.0, v[86:87] op_sel_hi:[1,0,1] neg_lo:[0,0,1] neg_hi:[0,0,1]
	ds_write2_b64 v184, v[46:47], v[88:89] offset0:36 offset1:54
	v_pk_add_f32 v[46:47], v[62:63], v[56:57] op_sel:[0,1] op_sel_hi:[1,0] neg_lo:[0,1] neg_hi:[0,1]
	v_pk_add_f32 v[56:57], v[62:63], v[56:57] op_sel:[0,1] op_sel_hi:[1,0]
	v_fmac_f32_e32 v83, 0x3f6c835e, v102
	v_mov_b32_e32 v47, v57
	v_fma_f32 v84, v100, 2.0, -v82
	v_fma_f32 v85, v85, 2.0, -v83
	v_pk_fma_f32 v[56:57], v[62:63], 2.0, v[46:47] op_sel_hi:[1,0,1] neg_lo:[0,0,1] neg_hi:[0,0,1]
	ds_write2_b64 v184, v[56:57], v[84:85] offset0:72 offset1:90
	v_pk_mul_f32 v[56:57], v[58:59], s[6:7] op_sel_hi:[1,0]
	v_pk_fma_f32 v[58:59], v[58:59], s[6:7], v[44:45] op_sel_hi:[1,0,1]
	v_mov_b32_e32 v157, v75
	v_pk_add_f32 v[62:63], v[58:59], v[56:57] op_sel:[0,1] op_sel_hi:[1,0] neg_lo:[0,1] neg_hi:[0,1]
	v_pk_add_f32 v[56:57], v[58:59], v[56:57] op_sel:[0,1] op_sel_hi:[1,0]
	s_nop 0
	v_mov_b32_e32 v63, v57
	v_pk_fma_f32 v[44:45], v[44:45], 2.0, v[62:63] op_sel_hi:[1,0,1] neg_lo:[0,0,1] neg_hi:[0,0,1]
	v_pk_fma_f32 v[56:57], v[96:97], 2.0, v[156:157] op_sel_hi:[1,0,1] neg_lo:[0,0,1] neg_hi:[0,0,1]
	ds_write2_b64 v184, v[44:45], v[56:57] offset0:108 offset1:126
	ds_write2_b64 v184, v[66:67], v[158:159] offset0:144 offset1:162
	;; [unrolled: 1-line block ×4, first 2 shown]
	v_add_u32_e32 v44, 0x400, v184
	ds_write2_b64 v44, v[62:63], v[156:157] offset0:124 offset1:142
	s_waitcnt lgkmcnt(0)
	; wave barrier
	s_waitcnt lgkmcnt(0)
	ds_read2_b64 v[92:95], v106 offset1:54
	ds_read2_b64 v[76:79], v61 offset0:88 offset1:160
	ds_read2_b64 v[96:99], v163 offset0:64 offset1:118
	;; [unrolled: 1-line block ×6, first 2 shown]
	ds_read_b64 v[158:159], v106 offset:6336
	s_and_saveexec_b64 s[6:7], vcc
	s_cbranch_execz .LBB0_13
; %bb.12:
	ds_read_b64 v[104:105], v106 offset:6768
	ds_read_b64 v[156:157], v106 offset:2160
	;; [unrolled: 1-line block ×3, first 2 shown]
	s_waitcnt lgkmcnt(2)
	v_mov_b32_e32 v154, v105
	s_waitcnt lgkmcnt(1)
	v_mov_b32_e32 v75, v157
.LBB0_13:
	s_or_b64 exec, exec, s[6:7]
	v_lshlrev_b32_e32 v44, 4, v126
	global_load_dwordx4 v[56:59], v44, s[4:5] offset:2280
	v_lshlrev_b32_e32 v44, 4, v60
	s_movk_i32 s6, 0xffee
	global_load_dwordx4 v[60:63], v44, s[4:5] offset:2280
	v_lshlrev_b32_e32 v44, 4, v64
	s_mov_b32 s7, -1
	global_load_dwordx4 v[64:67], v44, s[4:5] offset:2280
	v_lshl_add_u64 v[44:45], v[126:127], 0, s[6:7]
	v_cndmask_b32_e32 v45, v45, v73, vcc
	v_cndmask_b32_e32 v44, v44, v72, vcc
	v_lshl_add_u64 v[44:45], v[44:45], 4, s[4:5]
	global_load_dwordx4 v[44:47], v[44:45], off offset:2280
	v_lshlrev_b32_e32 v69, 4, v70
	v_lshlrev_b32_e32 v72, 4, v68
	v_mov_b32_e32 v157, v75
	global_load_dwordx4 v[68:71], v69, s[4:5] offset:2280
	s_nop 0
	global_load_dwordx4 v[72:75], v72, s[4:5] offset:2280
	s_mov_b32 s6, 0x3f5db3d7
	s_waitcnt vmcnt(5) lgkmcnt(6)
	v_pk_mul_f32 v[170:171], v[78:79], v[56:57] op_sel:[0,1]
	v_mov_b32_e32 v172, v59
	v_pk_fma_f32 v[182:183], v[78:79], v[56:57], v[170:171] op_sel:[0,0,1] op_sel_hi:[1,1,0] neg_lo:[0,0,1] neg_hi:[0,0,1]
	s_waitcnt vmcnt(4) lgkmcnt(4)
	v_pk_mul_f32 v[174:175], v[100:101], v[60:61] op_sel:[0,1]
	v_mov_b32_e32 v176, v63
	v_pk_fma_f32 v[78:79], v[78:79], v[56:57], v[170:171] op_sel:[0,0,1] op_sel_hi:[1,0,0]
	v_pk_mul_f32 v[170:171], v[96:97], v[172:173] op_sel_hi:[1,0]
	v_pk_fma_f32 v[172:173], v[100:101], v[60:61], v[174:175] op_sel:[0,0,1] op_sel_hi:[1,1,0] neg_lo:[0,0,1] neg_hi:[0,0,1]
	v_pk_fma_f32 v[100:101], v[100:101], v[60:61], v[174:175] op_sel:[0,0,1] op_sel_hi:[1,0,0]
	v_pk_mul_f32 v[174:175], v[98:99], v[176:177] op_sel_hi:[1,0]
	v_mov_b32_e32 v183, v79
	v_pk_fma_f32 v[78:79], v[96:97], v[58:59], v[170:171] op_sel:[0,0,1] op_sel_hi:[1,1,0] neg_lo:[0,0,1] neg_hi:[0,0,1]
	v_pk_fma_f32 v[96:97], v[96:97], v[58:59], v[170:171] op_sel:[0,0,1] op_sel_hi:[1,0,0]
	s_waitcnt vmcnt(3)
	v_pk_mul_f32 v[178:179], v[102:103], v[64:65] op_sel:[0,1]
	v_mov_b32_e32 v180, v67
	v_mov_b32_e32 v173, v101
	v_pk_fma_f32 v[100:101], v[98:99], v[62:63], v[174:175] op_sel:[0,0,1] op_sel_hi:[1,1,0] neg_lo:[0,0,1] neg_hi:[0,0,1]
	v_pk_fma_f32 v[98:99], v[98:99], v[62:63], v[174:175] op_sel:[0,0,1] op_sel_hi:[1,0,0]
	s_waitcnt vmcnt(2) lgkmcnt(0)
	v_pk_mul_f32 v[170:171], v[152:153], v[44:45] op_sel:[1,0]
	v_pk_mul_f32 v[154:155], v[154:155], v[46:47] op_sel_hi:[0,1]
	v_mov_b32_e32 v79, v97
	v_pk_add_f32 v[96:97], v[92:93], v[182:183]
	v_pk_fma_f32 v[176:177], v[102:103], v[64:65], v[178:179] op_sel:[0,0,1] op_sel_hi:[1,1,0] neg_lo:[0,0,1] neg_hi:[0,0,1]
	v_pk_fma_f32 v[102:103], v[102:103], v[64:65], v[178:179] op_sel:[0,0,1] op_sel_hi:[1,0,0]
	v_pk_mul_f32 v[178:179], v[88:89], v[180:181] op_sel_hi:[1,0]
	v_mov_b32_e32 v101, v99
	v_pk_add_f32 v[98:99], v[94:95], v[172:173]
	v_pk_fma_f32 v[174:175], v[152:153], v[44:45], v[170:171] op_sel:[0,0,1] op_sel_hi:[1,1,0] neg_lo:[0,0,1] neg_hi:[0,0,1]
	v_pk_fma_f32 v[152:153], v[152:153], v[44:45], v[170:171] op_sel:[0,0,1] op_sel_hi:[0,1,0]
	v_pk_fma_f32 v[170:171], v[104:105], v[46:47], v[154:155] op_sel:[0,0,1] op_sel_hi:[1,1,0] neg_lo:[0,0,1] neg_hi:[0,0,1]
	v_pk_fma_f32 v[104:105], v[104:105], v[46:47], v[154:155] op_sel:[0,0,1] op_sel_hi:[0,1,0]
	v_pk_add_f32 v[96:97], v[96:97], v[78:79]
	v_pk_add_f32 v[154:155], v[182:183], v[78:79]
	v_pk_add_f32 v[78:79], v[182:183], v[78:79] neg_lo:[0,1] neg_hi:[0,1]
	v_mov_b32_e32 v177, v103
	v_pk_fma_f32 v[102:103], v[88:89], v[66:67], v[178:179] op_sel:[0,0,1] op_sel_hi:[1,1,0] neg_lo:[0,0,1] neg_hi:[0,0,1]
	v_pk_fma_f32 v[88:89], v[88:89], v[66:67], v[178:179] op_sel:[0,0,1] op_sel_hi:[1,0,0]
	v_pk_add_f32 v[98:99], v[98:99], v[100:101]
	v_pk_add_f32 v[178:179], v[172:173], v[100:101]
	v_pk_add_f32 v[100:101], v[172:173], v[100:101] neg_lo:[0,1] neg_hi:[0,1]
	v_mov_b32_e32 v175, v153
	v_mov_b32_e32 v171, v105
	v_pk_fma_f32 v[92:93], v[154:155], 0.5, v[92:93] op_sel_hi:[1,0,1] neg_lo:[1,0,0] neg_hi:[1,0,0]
	v_pk_mul_f32 v[78:79], v[78:79], s[6:7] op_sel_hi:[1,0]
	v_pk_fma_f32 v[94:95], v[178:179], 0.5, v[94:95] op_sel_hi:[1,0,1] neg_lo:[1,0,0] neg_hi:[1,0,0]
	v_pk_mul_f32 v[100:101], v[100:101], s[6:7] op_sel_hi:[1,0]
	v_pk_add_f32 v[104:105], v[156:157], v[174:175]
	v_pk_add_f32 v[152:153], v[174:175], v[170:171]
	v_pk_add_f32 v[172:173], v[92:93], v[78:79] op_sel:[0,1] op_sel_hi:[1,0]
	v_pk_add_f32 v[78:79], v[92:93], v[78:79] op_sel:[0,1] op_sel_hi:[1,0] neg_lo:[0,1] neg_hi:[0,1]
	v_mov_b32_e32 v103, v89
	v_pk_add_f32 v[88:89], v[84:85], v[176:177]
	v_pk_add_f32 v[92:93], v[94:95], v[100:101] op_sel:[0,1] op_sel_hi:[1,0]
	v_pk_add_f32 v[94:95], v[94:95], v[100:101] op_sel:[0,1] op_sel_hi:[1,0] neg_lo:[0,1] neg_hi:[0,1]
	v_pk_fma_f32 v[100:101], v[152:153], 0.5, v[156:157] op_sel_hi:[1,0,1] neg_lo:[1,0,0] neg_hi:[1,0,0]
	v_pk_add_f32 v[152:153], v[104:105], v[170:171]
	v_mov_b32_e32 v104, v172
	v_mov_b32_e32 v105, v79
	;; [unrolled: 1-line block ×3, first 2 shown]
	v_pk_add_f32 v[154:155], v[174:175], v[170:171] neg_lo:[0,1] neg_hi:[0,1]
	ds_write_b64 v106, v[104:105] offset:2304
	ds_write_b64 v106, v[78:79] offset:4608
	ds_write2_b64 v106, v[96:97], v[98:99] offset1:54
	v_pk_add_f32 v[78:79], v[88:89], v[102:103]
	v_pk_add_f32 v[88:89], v[176:177], v[102:103]
	v_pk_mul_f32 v[154:155], v[154:155], s[6:7] op_sel_hi:[1,0]
	v_pk_fma_f32 v[84:85], v[88:89], 0.5, v[84:85] op_sel_hi:[1,0,1] neg_lo:[1,0,0] neg_hi:[1,0,0]
	v_pk_add_f32 v[88:89], v[176:177], v[102:103] neg_lo:[0,1] neg_hi:[0,1]
	v_mov_b32_e32 v170, v92
	v_mov_b32_e32 v171, v95
	;; [unrolled: 1-line block ×3, first 2 shown]
	v_pk_add_f32 v[92:93], v[100:101], v[154:155] op_sel:[0,1] op_sel_hi:[1,0]
	v_pk_add_f32 v[154:155], v[100:101], v[154:155] op_sel:[0,1] op_sel_hi:[1,0] neg_lo:[0,1] neg_hi:[0,1]
	v_pk_mul_f32 v[88:89], v[88:89], s[6:7] op_sel_hi:[1,0]
	v_mov_b32_e32 v156, v92
	v_mov_b32_e32 v157, v155
	;; [unrolled: 1-line block ×3, first 2 shown]
	v_pk_add_f32 v[92:93], v[84:85], v[88:89] op_sel:[0,1] op_sel_hi:[1,0]
	v_pk_add_f32 v[84:85], v[84:85], v[88:89] op_sel:[0,1] op_sel_hi:[1,0] neg_lo:[0,1] neg_hi:[0,1]
	v_mov_b32_e32 v88, v92
	v_mov_b32_e32 v89, v85
	;; [unrolled: 1-line block ×3, first 2 shown]
	ds_write2_b64 v163, v[94:95], v[84:85] offset0:118 offset1:172
	s_waitcnt vmcnt(0)
	v_pk_mul_f32 v[84:85], v[80:81], v[72:73] op_sel:[0,1]
	ds_write2_b64 v161, v[170:171], v[88:89] offset0:86 offset1:140
	v_pk_fma_f32 v[88:89], v[80:81], v[72:73], v[84:85] op_sel:[0,0,1] op_sel_hi:[1,1,0] neg_lo:[0,0,1] neg_hi:[0,0,1]
	v_pk_fma_f32 v[80:81], v[80:81], v[72:73], v[84:85] op_sel:[0,0,1] op_sel_hi:[1,0,0]
	s_nop 0
	v_mov_b32_e32 v80, v75
	v_mov_b32_e32 v89, v81
	v_pk_mul_f32 v[80:81], v[90:91], v[80:81] op_sel_hi:[1,0]
	s_nop 0
	v_pk_fma_f32 v[84:85], v[90:91], v[74:75], v[80:81] op_sel:[0,0,1] op_sel_hi:[1,1,0] neg_lo:[0,0,1] neg_hi:[0,0,1]
	v_pk_fma_f32 v[80:81], v[90:91], v[74:75], v[80:81] op_sel:[0,0,1] op_sel_hi:[1,0,0]
	s_nop 0
	v_mov_b32_e32 v85, v81
	v_pk_add_f32 v[80:81], v[86:87], v[88:89]
	s_nop 0
	v_pk_add_f32 v[80:81], v[80:81], v[84:85]
	ds_write2_b64 v106, v[78:79], v[80:81] offset0:108 offset1:162
	v_pk_add_f32 v[78:79], v[88:89], v[84:85]
	v_pk_add_f32 v[80:81], v[88:89], v[84:85] neg_lo:[0,1] neg_hi:[0,1]
	v_pk_fma_f32 v[78:79], v[78:79], 0.5, v[86:87] op_sel_hi:[1,0,1] neg_lo:[1,0,0] neg_hi:[1,0,0]
	v_pk_mul_f32 v[80:81], v[80:81], s[6:7] op_sel_hi:[1,0]
	s_nop 0
	v_pk_add_f32 v[84:85], v[78:79], v[80:81] op_sel:[0,1] op_sel_hi:[1,0]
	v_pk_add_f32 v[78:79], v[78:79], v[80:81] op_sel:[0,1] op_sel_hi:[1,0] neg_lo:[0,1] neg_hi:[0,1]
	v_mov_b32_e32 v80, v84
	v_mov_b32_e32 v81, v79
	;; [unrolled: 1-line block ×3, first 2 shown]
	v_pk_mul_f32 v[84:85], v[82:83], v[68:69] op_sel:[0,1]
	s_nop 0
	v_pk_fma_f32 v[86:87], v[82:83], v[68:69], v[84:85] op_sel:[0,0,1] op_sel_hi:[1,1,0] neg_lo:[0,0,1] neg_hi:[0,0,1]
	v_pk_fma_f32 v[82:83], v[82:83], v[68:69], v[84:85] op_sel:[0,0,1] op_sel_hi:[1,0,0]
	s_nop 0
	v_mov_b32_e32 v82, v71
	v_mov_b32_e32 v87, v83
	v_pk_mul_f32 v[82:83], v[158:159], v[82:83] op_sel_hi:[1,0]
	s_nop 0
	v_pk_fma_f32 v[84:85], v[158:159], v[70:71], v[82:83] op_sel:[0,0,1] op_sel_hi:[1,1,0] neg_lo:[0,0,1] neg_hi:[0,0,1]
	v_pk_fma_f32 v[82:83], v[158:159], v[70:71], v[82:83] op_sel:[0,0,1] op_sel_hi:[1,0,0]
	s_nop 0
	v_mov_b32_e32 v85, v83
	v_pk_add_f32 v[82:83], v[76:77], v[86:87]
	s_nop 0
	v_pk_add_f32 v[82:83], v[82:83], v[84:85]
	ds_write_b64 v106, v[82:83] offset:1728
	v_pk_add_f32 v[82:83], v[86:87], v[84:85]
	s_nop 0
	v_pk_fma_f32 v[76:77], v[82:83], 0.5, v[76:77] op_sel_hi:[1,0,1] neg_lo:[1,0,0] neg_hi:[1,0,0]
	v_pk_add_f32 v[82:83], v[86:87], v[84:85] neg_lo:[0,1] neg_hi:[0,1]
	s_nop 0
	v_pk_mul_f32 v[82:83], v[82:83], s[6:7] op_sel_hi:[1,0]
	s_nop 0
	v_pk_add_f32 v[84:85], v[76:77], v[82:83] op_sel:[0,1] op_sel_hi:[1,0]
	v_pk_add_f32 v[76:77], v[76:77], v[82:83] op_sel:[0,1] op_sel_hi:[1,0] neg_lo:[0,1] neg_hi:[0,1]
	v_mov_b32_e32 v82, v84
	v_mov_b32_e32 v83, v77
	;; [unrolled: 1-line block ×3, first 2 shown]
	ds_write2_b64 v161, v[80:81], v[82:83] offset0:194 offset1:248
	ds_write2_b64 v162, v[78:79], v[76:77] offset0:98 offset1:152
	s_and_saveexec_b64 s[4:5], vcc
	s_cbranch_execz .LBB0_15
; %bb.14:
	ds_write_b64 v106, v[152:153] offset:2160
	ds_write_b64 v106, v[156:157] offset:4464
	ds_write_b64 v106, v[154:155] offset:6768
.LBB0_15:
	s_or_b64 exec, exec, s[4:5]
	s_add_u32 s6, s14, 0x1b00
	s_addc_u32 s7, s15, 0
	v_lshlrev_b32_e32 v80, 3, v126
	s_waitcnt lgkmcnt(0)
	; wave barrier
	s_waitcnt lgkmcnt(0)
	global_load_dwordx2 v[82:83], v80, s[6:7]
	global_load_dwordx2 v[90:91], v80, s[6:7] offset:432
	v_mov_b32_e32 v81, 0
	global_load_dwordx2 v[162:163], v160, s[6:7]
	global_load_dwordx2 v[170:171], v80, s[6:7] offset:2304
	global_load_dwordx2 v[172:173], v80, s[6:7] offset:2736
	s_movk_i32 s4, 0x1000
	v_lshl_add_u64 v[76:77], s[6:7], 0, v[80:81]
	v_add_co_u32_e64 v78, s[4:5], s4, v76
	v_add_u32_e32 v81, 0x400, v106
	s_nop 0
	v_addc_co_u32_e64 v79, s[4:5], 0, v77, s[4:5]
	global_load_dwordx2 v[174:175], v[78:79], off offset:944
	global_load_dwordx2 v[176:177], v80, s[6:7] offset:864
	global_load_dwordx2 v[178:179], v80, s[6:7] offset:3168
	global_load_dwordx2 v[180:181], v[78:79], off offset:1376
	global_load_dwordx2 v[182:183], v80, s[6:7] offset:1296
	global_load_dwordx2 v[188:189], v80, s[6:7] offset:3600
	;; [unrolled: 3-line block ×3, first 2 shown]
	global_load_dwordx2 v[196:197], v[78:79], off offset:2240
	ds_read2_b64 v[86:89], v106 offset1:54
	v_add_u32_e32 v80, 0x1000, v106
	v_add_u32_e32 v84, 0x800, v106
	s_waitcnt vmcnt(14) lgkmcnt(0)
	v_mul_f32_e32 v85, v87, v83
	v_mul_f32_e32 v93, v86, v83
	v_fma_f32 v92, v86, v82, -v85
	v_fmac_f32_e32 v93, v87, v82
	s_waitcnt vmcnt(13)
	v_mul_f32_e32 v94, v89, v91
	v_mul_f32_e32 v83, v88, v91
	ds_write_b64 v106, v[92:93]
	v_fma_f32 v82, v88, v90, -v94
	v_fmac_f32_e32 v83, v89, v90
	ds_read2_b64 v[86:89], v81 offset0:88 offset1:160
	ds_read2_b64 v[90:93], v80 offset0:64 offset1:118
	;; [unrolled: 1-line block ×6, first 2 shown]
	s_waitcnt vmcnt(11) lgkmcnt(5)
	v_mul_f32_e32 v85, v89, v171
	v_mul_f32_e32 v199, v88, v171
	s_waitcnt lgkmcnt(4)
	v_mul_f32_e32 v127, v91, v163
	v_mul_f32_e32 v171, v90, v163
	s_waitcnt vmcnt(10) lgkmcnt(3)
	v_mul_f32_e32 v200, v95, v173
	v_mul_f32_e32 v163, v94, v173
	s_waitcnt vmcnt(9)
	v_mul_f32_e32 v201, v93, v175
	v_mul_f32_e32 v173, v92, v175
	s_waitcnt vmcnt(8) lgkmcnt(2)
	v_mul_f32_e32 v202, v99, v177
	v_mul_f32_e32 v175, v98, v177
	s_waitcnt vmcnt(7)
	;; [unrolled: 6-line block ×3, first 2 shown]
	v_mul_f32_e32 v205, v101, v183
	v_mul_f32_e32 v181, v100, v183
	s_waitcnt vmcnt(4) lgkmcnt(0)
	v_mul_f32_e32 v206, v159, v189
	v_mul_f32_e32 v183, v158, v189
	v_fma_f32 v198, v88, v170, -v85
	v_fmac_f32_e32 v199, v89, v170
	v_fma_f32 v170, v90, v162, -v127
	v_fmac_f32_e32 v171, v91, v162
	;; [unrolled: 2-line block ×3, first 2 shown]
	s_waitcnt vmcnt(3)
	v_mul_f32_e32 v207, v105, v191
	v_mul_f32_e32 v189, v104, v191
	s_waitcnt vmcnt(2)
	v_mul_f32_e32 v208, v87, v193
	v_mul_f32_e32 v191, v86, v193
	v_fma_f32 v172, v92, v174, -v201
	v_fmac_f32_e32 v173, v93, v174
	v_fma_f32 v174, v98, v176, -v202
	v_fmac_f32_e32 v175, v99, v176
	;; [unrolled: 2-line block ×6, first 2 shown]
	ds_write2_b64 v84, v[198:199], v[162:163] offset0:32 offset1:86
	ds_write2_b64 v106, v[82:83], v[174:175] offset0:54 offset1:108
	;; [unrolled: 1-line block ×4, first 2 shown]
	v_fma_f32 v188, v104, v190, -v207
	v_fmac_f32_e32 v189, v105, v190
	v_fma_f32 v190, v86, v192, -v208
	v_fmac_f32_e32 v191, v87, v192
	ds_read_b64 v[86:87], v106 offset:6336
	s_waitcnt vmcnt(1)
	v_mul_f32_e32 v82, v161, v195
	v_mul_f32_e32 v83, v160, v195
	v_fma_f32 v82, v160, v194, -v82
	v_fmac_f32_e32 v83, v161, v194
	v_add_u32_e32 v85, 0xc00, v106
	ds_write2_b64 v85, v[82:83], v[170:171] offset0:120 offset1:192
	s_waitcnt vmcnt(0) lgkmcnt(1)
	v_mul_f32_e32 v82, v87, v197
	v_mul_f32_e32 v83, v86, v197
	v_fma_f32 v82, v86, v196, -v82
	v_fmac_f32_e32 v83, v87, v196
	v_add_u32_e32 v85, 0x1400, v106
	ds_write2_b64 v106, v[180:181], v[190:191] offset0:162 offset1:216
	ds_write2_b64 v85, v[188:189], v[82:83] offset0:98 offset1:152
	s_and_saveexec_b64 s[4:5], vcc
	s_cbranch_execz .LBB0_17
; %bb.16:
	global_load_dwordx2 v[76:77], v[76:77], off offset:2160
	s_nop 0
	global_load_dwordx2 v[82:83], v[78:79], off offset:368
	s_nop 0
	global_load_dwordx2 v[78:79], v[78:79], off offset:2672
	ds_read_b64 v[86:87], v106 offset:2160
	ds_read_b64 v[88:89], v106 offset:4464
	;; [unrolled: 1-line block ×3, first 2 shown]
	s_waitcnt vmcnt(2) lgkmcnt(2)
	v_mul_f32_e32 v85, v87, v77
	v_mul_f32_e32 v93, v86, v77
	s_waitcnt vmcnt(1) lgkmcnt(1)
	v_mul_f32_e32 v94, v89, v83
	v_mul_f32_e32 v77, v88, v83
	;; [unrolled: 3-line block ×3, first 2 shown]
	v_fma_f32 v92, v86, v76, -v85
	v_fmac_f32_e32 v93, v87, v76
	v_fma_f32 v76, v88, v82, -v94
	v_fmac_f32_e32 v77, v89, v82
	;; [unrolled: 2-line block ×3, first 2 shown]
	ds_write_b64 v106, v[92:93] offset:2160
	ds_write_b64 v106, v[76:77] offset:4464
	;; [unrolled: 1-line block ×3, first 2 shown]
.LBB0_17:
	s_or_b64 exec, exec, s[4:5]
	s_waitcnt lgkmcnt(0)
	; wave barrier
	s_waitcnt lgkmcnt(0)
	ds_read2_b64 v[92:95], v106 offset1:54
	ds_read2_b64 v[102:105], v81 offset0:88 offset1:160
	ds_read2_b64 v[96:99], v80 offset0:64 offset1:118
	;; [unrolled: 1-line block ×6, first 2 shown]
	ds_read_b64 v[158:159], v106 offset:6336
	s_and_saveexec_b64 s[4:5], vcc
	s_cbranch_execz .LBB0_19
; %bb.18:
	ds_read_b64 v[152:153], v106 offset:2160
	ds_read_b64 v[156:157], v106 offset:4464
	ds_read_b64 v[154:155], v106 offset:6768
.LBB0_19:
	s_or_b64 exec, exec, s[4:5]
	s_waitcnt lgkmcnt(1)
	v_pk_add_f32 v[100:101], v[102:103], v[86:87]
	s_waitcnt lgkmcnt(0)
	v_pk_add_f32 v[160:161], v[86:87], v[158:159]
	v_pk_add_f32 v[86:87], v[86:87], v[158:159] neg_lo:[0,1] neg_hi:[0,1]
	s_mov_b32 s4, 0x3f5db3d7
	v_pk_fma_f32 v[102:103], v[160:161], 0.5, v[102:103] op_sel_hi:[1,0,1] neg_lo:[1,0,0] neg_hi:[1,0,0]
	v_pk_mul_f32 v[86:87], v[86:87], s[4:5] op_sel_hi:[1,0]
	v_pk_add_f32 v[100:101], v[100:101], v[158:159]
	v_pk_add_f32 v[158:159], v[102:103], v[86:87] op_sel:[0,1] op_sel_hi:[1,0]
	v_pk_add_f32 v[102:103], v[102:103], v[86:87] op_sel:[0,1] op_sel_hi:[1,0] neg_lo:[0,1] neg_hi:[0,1]
	v_pk_add_f32 v[86:87], v[152:153], v[156:157]
	v_pk_add_f32 v[170:171], v[92:93], v[104:105]
	;; [unrolled: 1-line block ×5, first 2 shown]
	v_pk_fma_f32 v[86:87], v[86:87], 0.5, v[152:153] op_sel_hi:[1,0,1] neg_lo:[1,0,0] neg_hi:[1,0,0]
	v_pk_add_f32 v[152:153], v[156:157], v[154:155] neg_lo:[0,1] neg_hi:[0,1]
	s_nop 0
	v_pk_fma_f32 v[160:161], v[152:153], s[4:5], v[86:87] op_sel:[0,0,1] op_sel_hi:[1,0,0]
	v_pk_fma_f32 v[156:157], v[152:153], s[4:5], v[86:87] op_sel:[0,0,1] op_sel_hi:[1,0,0] neg_lo:[1,0,0] neg_hi:[1,0,0]
	v_pk_add_f32 v[86:87], v[170:171], v[96:97]
	v_pk_add_f32 v[152:153], v[104:105], v[96:97]
	v_pk_add_f32 v[96:97], v[104:105], v[96:97] neg_lo:[0,1] neg_hi:[0,1]
	v_pk_fma_f32 v[92:93], v[152:153], 0.5, v[92:93] op_sel_hi:[1,0,1] neg_lo:[1,0,0] neg_hi:[1,0,0]
	v_pk_mul_f32 v[96:97], v[96:97], s[4:5] op_sel_hi:[1,0]
	; wave barrier
	s_nop 0
	v_pk_add_f32 v[104:105], v[92:93], v[96:97] op_sel:[0,1] op_sel_hi:[1,0] neg_lo:[0,1] neg_hi:[0,1]
	v_pk_add_f32 v[92:93], v[92:93], v[96:97] op_sel:[0,1] op_sel_hi:[1,0]
	v_mov_b32_e32 v96, v104
	v_mov_b32_e32 v97, v93
	;; [unrolled: 1-line block ×3, first 2 shown]
	ds_write_b64 v164, v[92:93] offset:16
	v_pk_add_f32 v[92:93], v[88:89], v[98:99]
	v_pk_add_f32 v[88:89], v[88:89], v[98:99] neg_lo:[0,1] neg_hi:[0,1]
	v_pk_fma_f32 v[92:93], v[92:93], 0.5, v[94:95] op_sel_hi:[1,0,1] neg_lo:[1,0,0] neg_hi:[1,0,0]
	v_pk_mul_f32 v[88:89], v[88:89], s[4:5] op_sel_hi:[1,0]
	v_pk_add_f32 v[174:175], v[76:77], v[90:91]
	v_pk_add_f32 v[94:95], v[92:93], v[88:89] op_sel:[0,1] op_sel_hi:[1,0] neg_lo:[0,1] neg_hi:[0,1]
	v_pk_add_f32 v[88:89], v[92:93], v[88:89] op_sel:[0,1] op_sel_hi:[1,0]
	ds_write2_b64 v164, v[86:87], v[96:97] offset1:1
	v_pk_add_f32 v[86:87], v[172:173], v[98:99]
	v_mov_b32_e32 v92, v94
	v_mov_b32_e32 v93, v89
	;; [unrolled: 1-line block ×3, first 2 shown]
	ds_write2_b64 v165, v[86:87], v[92:93] offset1:1
	ds_write_b64 v165, v[88:89] offset:16
	v_pk_add_f32 v[86:87], v[174:175], v[80:81]
	v_pk_add_f32 v[88:89], v[90:91], v[80:81]
	v_pk_add_f32 v[80:81], v[90:91], v[80:81] neg_lo:[0,1] neg_hi:[0,1]
	v_pk_fma_f32 v[76:77], v[88:89], 0.5, v[76:77] op_sel_hi:[1,0,1] neg_lo:[1,0,0] neg_hi:[1,0,0]
	v_pk_mul_f32 v[80:81], v[80:81], s[4:5] op_sel_hi:[1,0]
	v_pk_add_f32 v[176:177], v[78:79], v[84:85]
	v_pk_add_f32 v[88:89], v[76:77], v[80:81] op_sel:[0,1] op_sel_hi:[1,0] neg_lo:[0,1] neg_hi:[0,1]
	v_pk_add_f32 v[76:77], v[76:77], v[80:81] op_sel:[0,1] op_sel_hi:[1,0]
	v_mov_b32_e32 v80, v88
	v_mov_b32_e32 v81, v77
	ds_write2_b64 v166, v[86:87], v[80:81] offset1:1
	v_pk_add_f32 v[80:81], v[84:85], v[82:83]
	v_mov_b32_e32 v77, v89
	v_pk_fma_f32 v[78:79], v[80:81], 0.5, v[78:79] op_sel_hi:[1,0,1] neg_lo:[1,0,0] neg_hi:[1,0,0]
	v_pk_add_f32 v[80:81], v[84:85], v[82:83] neg_lo:[0,1] neg_hi:[0,1]
	ds_write_b64 v166, v[76:77] offset:16
	v_pk_mul_f32 v[80:81], v[80:81], s[4:5] op_sel_hi:[1,0]
	v_pk_add_f32 v[76:77], v[176:177], v[82:83]
	v_pk_add_f32 v[82:83], v[78:79], v[80:81] op_sel:[0,1] op_sel_hi:[1,0] neg_lo:[0,1] neg_hi:[0,1]
	v_pk_add_f32 v[78:79], v[78:79], v[80:81] op_sel:[0,1] op_sel_hi:[1,0]
	v_mov_b32_e32 v80, v82
	v_mov_b32_e32 v81, v79
	ds_write2_b64 v167, v[76:77], v[80:81] offset1:1
	v_mov_b32_e32 v79, v83
	v_mov_b32_e32 v76, v102
	;; [unrolled: 1-line block ×3, first 2 shown]
	ds_write_b64 v167, v[78:79] offset:16
	ds_write2_b64 v168, v[100:101], v[76:77] offset1:1
	v_mov_b32_e32 v76, v158
	v_mov_b32_e32 v77, v103
	ds_write_b64 v168, v[76:77] offset:16
	s_and_saveexec_b64 s[4:5], vcc
	s_cbranch_execz .LBB0_21
; %bb.20:
	v_lshlrev_b32_e32 v78, 3, v169
	v_mov_b32_e32 v76, v157
	v_mov_b32_e32 v77, v160
	ds_write2_b64 v78, v[162:163], v[76:77] offset1:1
	v_mov_b32_e32 v76, v161
	v_mov_b32_e32 v77, v156
	ds_write_b64 v78, v[76:77] offset:16
.LBB0_21:
	s_or_b64 exec, exec, s[4:5]
	v_add_u32_e32 v80, 0x800, v106
	s_waitcnt lgkmcnt(0)
	; wave barrier
	s_waitcnt lgkmcnt(0)
	ds_read2_b64 v[76:79], v106 offset1:54
	ds_read2_b64 v[96:99], v106 offset0:144 offset1:198
	ds_read2_b64 v[92:95], v80 offset0:32 offset1:86
	ds_read2_b64 v[88:91], v80 offset0:176 offset1:230
	v_add_u32_e32 v80, 0x1000, v106
	ds_read2_b64 v[84:87], v80 offset0:64 offset1:118
	v_add_u32_e32 v80, 0x1400, v106
	ds_read2_b64 v[80:83], v80 offset0:80 offset1:134
	s_and_saveexec_b64 s[4:5], s[2:3]
	s_xor_b64 s[2:3], exec, s[4:5]
	s_or_saveexec_b64 s[2:3], s[2:3]
	v_mov_b32_e32 v182, v12
	v_mov_b32_e32 v183, v12
	;; [unrolled: 1-line block ×30, first 2 shown]
	s_xor_b64 exec, exec, s[2:3]
	s_cbranch_execz .LBB0_23
; %bb.22:
	v_add_u32_e32 v100, 0x1400, v106
	ds_read2_b64 v[152:155], v100 offset0:44 offset1:188
	v_add_u32_e32 v100, 0xc00, v106
	ds_read2_b64 v[188:191], v100 offset0:12 offset1:156
	ds_read2_b64 v[100:103], v106 offset0:108 offset1:252
	s_waitcnt lgkmcnt(2)
	v_mov_b32_e32 v160, v153
	v_mov_b32_e32 v161, v154
	s_waitcnt lgkmcnt(1)
	v_mov_b32_e32 v158, v188
	s_waitcnt lgkmcnt(0)
	v_mov_b32_e32 v159, v103
	v_mov_b32_e32 v156, v155
	;; [unrolled: 1-line block ×4, first 2 shown]
	v_mov_b64_e32 v[162:163], v[190:191]
.LBB0_23:
	s_or_b64 exec, exec, s[2:3]
	s_waitcnt lgkmcnt(4)
	v_pk_mul_f32 v[188:189], v[12:13], v[96:97]
	s_waitcnt lgkmcnt(1)
	v_pk_mul_f32 v[194:195], v[10:11], v[84:85]
	v_pk_mul_f32 v[10:11], v[4:5], v[158:159] op_sel:[0,1]
	v_pk_mul_f32 v[12:13], v[0:1], v[162:163] op_sel:[0,1]
	v_pk_mul_f32 v[192:193], v[8:9], v[88:89]
	v_pk_mul_f32 v[202:203], v[50:51], v[86:87]
	v_pk_mul_f32 v[50:51], v[144:145], v[156:157] op_sel_hi:[1,0]
	v_pk_fma_f32 v[8:9], v[4:5], v[102:103], v[10:11] op_sel:[0,0,1] op_sel_hi:[1,0,0]
	v_pk_fma_f32 v[4:5], v[4:5], v[102:103], v[10:11] op_sel:[0,0,1] op_sel_hi:[1,0,0] neg_lo:[1,0,0] neg_hi:[1,0,0]
	v_pk_fma_f32 v[10:11], v[0:1], v[162:163], v[12:13] op_sel:[0,0,1] op_sel_hi:[1,1,0]
	v_pk_fma_f32 v[0:1], v[0:1], v[162:163], v[12:13] op_sel:[0,0,1] op_sel_hi:[1,0,0] neg_lo:[1,0,0] neg_hi:[1,0,0]
	v_pk_fma_f32 v[12:13], v[144:145], v[160:161], v[50:51] op_sel:[0,1,1] op_sel_hi:[1,1,0] neg_lo:[1,0,0] neg_hi:[1,0,0]
	v_mov_b32_e32 v11, v1
	v_pk_fma_f32 v[0:1], v[144:145], v[160:161], v[50:51] op_sel:[0,1,1] op_sel_hi:[1,1,0]
	v_pk_mul_f32 v[190:191], v[14:15], v[92:93]
	v_mov_b32_e32 v1, v13
	v_pk_mul_f32 v[14:15], v[6:7], v[102:103] op_sel:[0,1]
	v_pk_add_f32 v[12:13], v[10:11], v[0:1]
	v_pk_mul_f32 v[200:201], v[48:49], v[90:91]
	v_pk_mul_f32 v[48:49], v[2:3], v[160:161] op_sel_hi:[1,0]
	v_fma_f32 v4, -0.5, v12, v8
	v_fma_f32 v102, -0.5, v13, v5
	v_pk_fma_f32 v[12:13], v[6:7], v[158:159], v[14:15] op_sel:[0,0,1] op_sel_hi:[1,1,0]
	v_pk_fma_f32 v[6:7], v[6:7], v[158:159], v[14:15] op_sel:[0,0,1] op_sel_hi:[1,0,0] neg_lo:[1,0,0] neg_hi:[1,0,0]
	v_pk_fma_f32 v[144:145], v[180:181], v[92:93], v[190:191] op_sel:[0,0,1] op_sel_hi:[1,1,0]
	v_mov_b32_e32 v13, v7
	v_pk_fma_f32 v[6:7], v[2:3], v[156:157], v[48:49] op_sel:[0,1,1] op_sel_hi:[1,1,0]
	v_pk_fma_f32 v[2:3], v[2:3], v[156:157], v[48:49] op_sel:[0,1,1] op_sel_hi:[1,1,0] neg_lo:[1,0,0] neg_hi:[1,0,0]
	v_pk_fma_f32 v[92:93], v[180:181], v[92:93], v[190:191] op_sel:[0,0,1] op_sel_hi:[1,1,0] neg_lo:[0,0,1] neg_hi:[0,0,1]
	v_mov_b32_e32 v7, v3
	s_mov_b32 s4, 0x3f5db3d7
	v_pk_add_f32 v[2:3], v[6:7], v[12:13]
	v_pk_add_f32 v[14:15], v[12:13], v[6:7] neg_lo:[0,1] neg_hi:[0,1]
	v_mov_b32_e32 v145, v93
	v_pk_fma_f32 v[92:93], v[178:179], v[88:89], v[192:193] op_sel:[0,0,1] op_sel_hi:[1,1,0]
	v_pk_fma_f32 v[88:89], v[178:179], v[88:89], v[192:193] op_sel:[0,0,1] op_sel_hi:[1,1,0] neg_lo:[0,0,1] neg_hi:[0,0,1]
	s_waitcnt lgkmcnt(0)
	v_pk_mul_f32 v[146:147], v[146:147], v[80:81]
	v_pk_add_f32 v[50:51], v[10:11], v[0:1] neg_lo:[0,1] neg_hi:[0,1]
	v_pk_fma_f32 v[2:3], v[2:3], 0.5, v[100:101] op_sel_hi:[1,0,1] neg_lo:[1,0,0] neg_hi:[1,0,0]
	v_pk_mul_f32 v[14:15], v[14:15], s[4:5] op_sel_hi:[1,0]
	s_mov_b32 s6, 0.5
	v_mov_b32_e32 v93, v89
	v_pk_fma_f32 v[88:89], v[176:177], v[84:85], v[194:195] op_sel:[0,0,1] op_sel_hi:[1,1,0]
	v_pk_fma_f32 v[84:85], v[176:177], v[84:85], v[194:195] op_sel:[0,0,1] op_sel_hi:[1,1,0] neg_lo:[0,0,1] neg_hi:[0,0,1]
	v_pk_mul_f32 v[196:197], v[52:53], v[98:99]
	v_fmamk_f32 v52, v50, 0x3f5db3d7, v102
	v_fmac_f32_e32 v102, 0xbf5db3d7, v50
	v_pk_add_f32 v[48:49], v[2:3], v[14:15] op_sel:[0,1] op_sel_hi:[1,0] neg_lo:[0,1] neg_hi:[0,1]
	v_pk_add_f32 v[2:3], v[2:3], v[14:15] op_sel:[0,1] op_sel_hi:[1,0]
	s_mov_b32 s5, s6
	v_mov_b32_e32 v89, v85
	v_pk_fma_f32 v[84:85], v[174:175], v[80:81], v[146:147] op_sel:[0,0,1] op_sel_hi:[1,1,0]
	v_pk_fma_f32 v[80:81], v[174:175], v[80:81], v[146:147] op_sel:[0,0,1] op_sel_hi:[1,1,0] neg_lo:[0,0,1] neg_hi:[0,0,1]
	v_mov_b32_e32 v14, v48
	v_mov_b32_e32 v15, v3
	;; [unrolled: 1-line block ×3, first 2 shown]
	v_pk_mul_f32 v[48:49], v[102:103], s[4:5] op_sel_hi:[0,1]
	v_pk_fma_f32 v[102:103], v[182:183], v[96:97], v[188:189] op_sel:[0,0,1] op_sel_hi:[1,1,0]
	v_pk_fma_f32 v[96:97], v[182:183], v[96:97], v[188:189] op_sel:[0,0,1] op_sel_hi:[1,1,0] neg_lo:[0,0,1] neg_hi:[0,0,1]
	v_mov_b32_e32 v85, v81
	v_pk_mul_f32 v[198:199], v[54:55], v[94:95]
	s_mov_b32 s2, -0.5
	v_fmamk_f32 v54, v51, 0xbf5db3d7, v4
	v_fmac_f32_e32 v4, 0x3f5db3d7, v51
	s_mov_b32 s7, s4
	v_pk_mul_f32 v[50:51], v[52:53], s[4:5] op_sel_hi:[0,1]
	s_mov_b32 s3, s4
	v_mov_b32_e32 v103, v97
	v_pk_add_f32 v[146:147], v[92:93], v[84:85]
	v_pk_fma_f32 v[52:53], v[54:55], s[6:7], v[50:51] neg_lo:[0,0,1] neg_hi:[0,0,1]
	v_pk_fma_f32 v[50:51], v[54:55], s[6:7], v[50:51] op_sel_hi:[0,1,1]
	v_pk_fma_f32 v[54:55], v[4:5], s[2:3], v[48:49] op_sel_hi:[0,1,1] neg_lo:[0,0,1] neg_hi:[0,0,1]
	v_pk_add_f32 v[80:81], v[76:77], v[144:145]
	v_mov_b32_e32 v4, v102
	v_pk_add_f32 v[156:157], v[92:93], v[84:85] neg_lo:[0,1] neg_hi:[0,1]
	v_pk_add_f32 v[92:93], v[102:103], v[92:93]
	v_fmac_f32_e32 v97, -0.5, v147
	v_pk_add_f32 v[80:81], v[80:81], v[88:89]
	v_fmac_f32_e32 v4, -0.5, v146
	v_pk_add_f32 v[84:85], v[92:93], v[84:85]
	v_fmamk_f32 v92, v156, 0x3f5db3d7, v97
	v_pk_add_f32 v[146:147], v[144:145], v[88:89]
	v_pk_add_f32 v[88:89], v[144:145], v[88:89] neg_lo:[0,1] neg_hi:[0,1]
	v_fmamk_f32 v96, v157, 0xbf5db3d7, v4
	v_fmac_f32_e32 v97, 0xbf5db3d7, v156
	v_pk_fma_f32 v[76:77], v[146:147], 0.5, v[76:77] op_sel_hi:[1,0,1] neg_lo:[1,0,0] neg_hi:[1,0,0]
	v_pk_mul_f32 v[88:89], v[88:89], s[4:5] op_sel_hi:[1,0]
	v_pk_mul_f32 v[92:93], v[92:93], s[4:5] op_sel_hi:[0,1]
	v_pk_add_f32 v[144:145], v[76:77], v[88:89] op_sel:[0,1] op_sel_hi:[1,0] neg_lo:[0,1] neg_hi:[0,1]
	v_pk_add_f32 v[76:77], v[76:77], v[88:89] op_sel:[0,1] op_sel_hi:[1,0]
	v_pk_fma_f32 v[146:147], v[96:97], s[6:7], v[92:93] neg_lo:[0,0,1] neg_hi:[0,0,1]
	v_pk_fma_f32 v[92:93], v[96:97], s[6:7], v[92:93] op_sel_hi:[0,1,1]
	v_mov_b32_e32 v88, v144
	v_mov_b32_e32 v89, v77
	v_mov_b32_e32 v147, v93
	v_pk_add_f32 v[102:103], v[80:81], v[84:85]
	v_pk_add_f32 v[92:93], v[88:89], v[146:147]
	s_waitcnt lgkmcnt(0)
	; wave barrier
	ds_write2_b64 v185, v[102:103], v[92:93] offset1:3
	v_mov_b32_e32 v92, v97
	v_fmac_f32_e32 v4, 0x3f5db3d7, v157
	v_pk_mul_f32 v[92:93], v[92:93], s[4:5] op_sel_hi:[0,1]
	v_pk_fma_f32 v[92:93], v[4:5], s[2:3], v[92:93] op_sel_hi:[0,1,1] neg_lo:[0,0,1] neg_hi:[0,0,1]
	v_mov_b32_e32 v77, v145
	v_pk_add_f32 v[96:97], v[76:77], v[92:93]
	v_pk_add_f32 v[80:81], v[80:81], v[84:85] neg_lo:[0,1] neg_hi:[0,1]
	ds_write2_b64 v185, v[96:97], v[80:81] offset0:6 offset1:9
	v_pk_add_f32 v[80:81], v[88:89], v[146:147] neg_lo:[0,1] neg_hi:[0,1]
	v_pk_fma_f32 v[84:85], v[170:171], v[94:95], v[198:199] op_sel:[0,0,1] op_sel_hi:[1,1,0]
	v_pk_fma_f32 v[88:89], v[170:171], v[94:95], v[198:199] op_sel:[0,0,1] op_sel_hi:[1,1,0] neg_lo:[0,0,1] neg_hi:[0,0,1]
	v_pk_mul_f32 v[150:151], v[150:151], v[82:83]
	v_mov_b32_e32 v85, v89
	v_pk_fma_f32 v[88:89], v[168:169], v[90:91], v[200:201] op_sel:[0,0,1] op_sel_hi:[1,1,0]
	v_pk_fma_f32 v[90:91], v[168:169], v[90:91], v[200:201] op_sel:[0,0,1] op_sel_hi:[1,1,0] neg_lo:[0,0,1] neg_hi:[0,0,1]
	v_pk_add_f32 v[76:77], v[76:77], v[92:93] neg_lo:[0,1] neg_hi:[0,1]
	v_mov_b32_e32 v89, v91
	v_pk_fma_f32 v[90:91], v[166:167], v[86:87], v[202:203] op_sel:[0,0,1] op_sel_hi:[1,1,0]
	v_pk_fma_f32 v[86:87], v[166:167], v[86:87], v[202:203] op_sel:[0,0,1] op_sel_hi:[1,1,0] neg_lo:[0,0,1] neg_hi:[0,0,1]
	ds_write2_b64 v185, v[80:81], v[76:77] offset0:12 offset1:15
	v_mov_b32_e32 v91, v87
	v_pk_fma_f32 v[86:87], v[164:165], v[82:83], v[150:151] op_sel:[0,0,1] op_sel_hi:[1,1,0]
	v_pk_fma_f32 v[82:83], v[164:165], v[82:83], v[150:151] op_sel:[0,0,1] op_sel_hi:[1,1,0] neg_lo:[0,0,1] neg_hi:[0,0,1]
	v_pk_fma_f32 v[76:77], v[172:173], v[98:99], v[196:197] op_sel:[0,0,1] op_sel_hi:[1,1,0]
	v_pk_fma_f32 v[80:81], v[172:173], v[98:99], v[196:197] op_sel:[0,0,1] op_sel_hi:[1,1,0] neg_lo:[0,0,1] neg_hi:[0,0,1]
	v_mov_b32_e32 v87, v83
	v_mov_b32_e32 v77, v81
	v_pk_add_f32 v[92:93], v[88:89], v[86:87]
	v_mov_b32_e32 v4, v76
	v_pk_add_f32 v[94:95], v[88:89], v[86:87] neg_lo:[0,1] neg_hi:[0,1]
	v_pk_add_f32 v[76:77], v[76:77], v[88:89]
	v_fmac_f32_e32 v81, -0.5, v93
	v_pk_add_f32 v[82:83], v[78:79], v[84:85]
	v_fmac_f32_e32 v4, -0.5, v92
	v_pk_add_f32 v[76:77], v[76:77], v[86:87]
	v_fmamk_f32 v86, v94, 0x3f5db3d7, v81
	v_pk_add_f32 v[92:93], v[84:85], v[90:91]
	v_pk_add_f32 v[84:85], v[84:85], v[90:91] neg_lo:[0,1] neg_hi:[0,1]
	v_fmamk_f32 v80, v95, 0xbf5db3d7, v4
	v_fmac_f32_e32 v81, 0xbf5db3d7, v94
	v_pk_fma_f32 v[78:79], v[92:93], 0.5, v[78:79] op_sel_hi:[1,0,1] neg_lo:[1,0,0] neg_hi:[1,0,0]
	v_pk_mul_f32 v[84:85], v[84:85], s[4:5] op_sel_hi:[1,0]
	v_pk_mul_f32 v[86:87], v[86:87], s[4:5] op_sel_hi:[0,1]
	v_pk_add_f32 v[82:83], v[82:83], v[90:91]
	v_pk_add_f32 v[90:91], v[78:79], v[84:85] op_sel:[0,1] op_sel_hi:[1,0] neg_lo:[0,1] neg_hi:[0,1]
	v_pk_add_f32 v[78:79], v[78:79], v[84:85] op_sel:[0,1] op_sel_hi:[1,0]
	v_pk_fma_f32 v[92:93], v[80:81], s[6:7], v[86:87] neg_lo:[0,0,1] neg_hi:[0,0,1]
	v_pk_fma_f32 v[86:87], v[80:81], s[6:7], v[86:87] op_sel_hi:[0,1,1]
	v_mov_b32_e32 v80, v81
	v_fmac_f32_e32 v4, 0x3f5db3d7, v95
	v_mov_b32_e32 v84, v90
	v_mov_b32_e32 v85, v79
	;; [unrolled: 1-line block ×3, first 2 shown]
	v_pk_mul_f32 v[80:81], v[80:81], s[4:5] op_sel_hi:[0,1]
	v_pk_add_f32 v[88:89], v[82:83], v[76:77]
	v_pk_add_f32 v[86:87], v[84:85], v[92:93]
	v_pk_fma_f32 v[80:81], v[4:5], s[2:3], v[80:81] op_sel_hi:[0,1,1] neg_lo:[0,0,1] neg_hi:[0,0,1]
	v_mov_b32_e32 v79, v91
	v_mov_b32_e32 v53, v51
	ds_write2_b64 v186, v[88:89], v[86:87] offset1:3
	v_pk_add_f32 v[86:87], v[78:79], v[80:81]
	v_pk_add_f32 v[76:77], v[82:83], v[76:77] neg_lo:[0,1] neg_hi:[0,1]
	v_mov_b32_e32 v152, v20
	v_mov_b32_e32 v153, v20
	;; [unrolled: 1-line block ×9, first 2 shown]
	v_pk_add_f32 v[50:51], v[14:15], v[52:53] neg_lo:[0,1] neg_hi:[0,1]
	v_pk_add_f32 v[48:49], v[2:3], v[54:55] neg_lo:[0,1] neg_hi:[0,1]
	ds_write2_b64 v186, v[86:87], v[76:77] offset0:6 offset1:9
	v_pk_add_f32 v[76:77], v[84:85], v[92:93] neg_lo:[0,1] neg_hi:[0,1]
	v_pk_add_f32 v[78:79], v[78:79], v[80:81] neg_lo:[0,1] neg_hi:[0,1]
	ds_write2_b64 v186, v[76:77], v[78:79] offset0:12 offset1:15
	s_and_saveexec_b64 s[2:3], s[0:1]
	s_cbranch_execz .LBB0_25
; %bb.24:
	v_mov_b32_e32 v9, v5
	v_pk_add_f32 v[4:5], v[10:11], v[8:9]
	v_pk_add_f32 v[8:9], v[12:13], v[100:101]
	;; [unrolled: 1-line block ×4, first 2 shown]
	v_add_lshl_u32 v10, v187, v135, 3
	v_pk_add_f32 v[4:5], v[6:7], v[0:1]
	v_pk_add_f32 v[8:9], v[14:15], v[52:53]
	v_pk_add_f32 v[2:3], v[2:3], v[54:55]
	v_pk_add_f32 v[0:1], v[6:7], v[0:1] neg_lo:[0,1] neg_hi:[0,1]
	ds_write2_b64 v10, v[4:5], v[8:9] offset1:3
	ds_write2_b64 v10, v[2:3], v[0:1] offset0:6 offset1:9
	ds_write2_b64 v10, v[50:51], v[48:49] offset0:12 offset1:15
.LBB0_25:
	s_or_b64 exec, exec, s[2:3]
	v_mov_b32_e32 v52, v68
	v_mov_b32_e32 v53, v68
	v_add_u32_e32 v68, 0x400, v106
	s_waitcnt lgkmcnt(0)
	; wave barrier
	s_waitcnt lgkmcnt(0)
	ds_read2_b64 v[0:3], v106 offset1:54
	ds_read2_b64 v[4:7], v106 offset0:108 offset1:162
	ds_read2_b64 v[8:11], v68 offset0:88 offset1:142
	v_add_u32_e32 v90, 0x800, v106
	ds_read2_b64 v[12:15], v90 offset0:68 offset1:122
	ds_read2_b64 v[94:97], v90 offset0:176 offset1:230
	v_add_u32_e32 v92, 0x1000, v106
	v_mov_b32_e32 v160, v41
	v_mov_b32_e32 v161, v37
	s_waitcnt lgkmcnt(4)
	v_mov_b32_e32 v162, v3
	s_waitcnt lgkmcnt(2)
	v_mov_b32_e32 v163, v11
	ds_read2_b64 v[98:101], v92 offset0:28 offset1:82
	ds_read2_b64 v[144:147], v92 offset0:136 offset1:190
	v_mov_b32_e32 v102, v40
	v_pk_mul_f32 v[160:161], v[160:161], v[162:163]
	v_mov_b32_e32 v163, v40
	v_mov_b32_e32 v164, v11
	;; [unrolled: 1-line block ×6, first 2 shown]
	v_pk_mul_f32 v[2:3], v[40:41], v[10:11]
	v_mov_b32_e32 v40, v43
	v_mov_b32_e32 v41, v39
	;; [unrolled: 1-line block ×3, first 2 shown]
	s_waitcnt lgkmcnt(3)
	v_mov_b32_e32 v167, v13
	v_mov_b32_e32 v151, v10
	;; [unrolled: 1-line block ×3, first 2 shown]
	v_pk_mul_f32 v[40:41], v[40:41], v[166:167]
	v_mov_b32_e32 v167, v42
	v_mov_b32_e32 v168, v13
	;; [unrolled: 1-line block ×4, first 2 shown]
	v_add_u32_e32 v91, 0x1400, v106
	v_mov_b32_e32 v103, v36
	v_mov_b32_e32 v162, v36
	;; [unrolled: 1-line block ×5, first 2 shown]
	v_pk_mul_f32 v[4:5], v[42:43], v[12:13]
	v_mov_b32_e32 v12, v25
	ds_read2_b64 v[156:159], v91 offset0:116 offset1:170
	s_waitcnt lgkmcnt(2)
	v_pk_mul_f32 v[12:13], v[12:13], v[100:101] op_sel:[0,1] op_sel_hi:[1,0]
	v_mov_b32_e32 v11, v38
	v_mov_b32_e32 v166, v38
	v_pk_fma_f32 v[12:13], v[24:25], v[100:101], v[12:13]
	v_pk_mul_f32 v[38:39], v[24:25], v[100:101] op_sel:[0,1] op_sel_hi:[1,0]
	v_mov_b32_e32 v170, v97
	v_mov_b32_e32 v13, v38
	v_pk_fma_f32 v[24:25], v[24:25], v[100:101], v[12:13] op_sel:[0,1,0] op_sel_hi:[1,0,1] neg_lo:[1,0,0] neg_hi:[1,0,0]
	v_mov_b32_e32 v100, v33
	v_mov_b32_e32 v101, v29
	s_waitcnt lgkmcnt(1)
	v_mov_b32_e32 v171, v147
	v_mov_b32_e32 v38, v32
	v_pk_mul_f32 v[100:101], v[100:101], v[170:171]
	v_mov_b32_e32 v171, v32
	v_mov_b32_e32 v172, v147
	;; [unrolled: 1-line block ×7, first 2 shown]
	v_pk_mul_f32 v[28:29], v[32:33], v[146:147]
	v_mov_b32_e32 v146, v35
	v_mov_b32_e32 v147, v31
	;; [unrolled: 1-line block ×3, first 2 shown]
	s_waitcnt lgkmcnt(0)
	v_mov_b32_e32 v175, v157
	v_mov_b32_e32 v42, v96
	;; [unrolled: 1-line block ×4, first 2 shown]
	v_pk_mul_f32 v[146:147], v[146:147], v[174:175]
	v_mov_b32_e32 v175, v34
	v_mov_b32_e32 v176, v157
	;; [unrolled: 1-line block ×6, first 2 shown]
	v_pk_mul_f32 v[98:99], v[148:149], v[158:159] op_sel:[0,1] op_sel_hi:[1,0]
	v_mov_b32_e32 v33, v30
	v_mov_b32_e32 v174, v30
	v_pk_mul_f32 v[30:31], v[34:35], v[156:157]
	v_pk_mul_f32 v[34:35], v[24:25], v[158:159] op_sel:[0,1] op_sel_hi:[1,0]
	v_mov_b32_e32 v24, v99
	v_pk_fma_f32 v[34:35], v[148:149], v[158:159], v[34:35]
	v_pk_fma_f32 v[98:99], v[148:149], v[158:159], v[24:25] op_sel:[0,1,0] op_sel_hi:[1,0,1] neg_lo:[0,0,1] neg_hi:[0,0,1]
	v_mov_b32_e32 v24, v9
	v_pk_mul_f32 v[148:149], v[22:23], v[8:9] op_sel:[1,0] op_sel_hi:[0,0]
	v_pk_mul_f32 v[18:19], v[18:19], v[94:95]
	v_mov_b32_e32 v173, v97
	v_mov_b32_e32 v97, v156
	v_pk_fma_f32 v[156:157], v[22:23], v[24:25], v[148:149] neg_lo:[0,0,1] neg_hi:[0,0,1]
	v_pk_fma_f32 v[8:9], v[22:23], v[8:9], v[148:149] op_sel:[0,1,0]
	v_pk_fma_f32 v[22:23], v[154:155], v[94:95], v[18:19] op_sel:[0,0,1] op_sel_hi:[1,1,0]
	v_pk_fma_f32 v[18:19], v[154:155], v[94:95], v[18:19] op_sel:[0,0,1] op_sel_hi:[1,1,0] neg_lo:[0,0,1] neg_hi:[0,0,1]
	v_pk_fma_f32 v[10:11], v[10:11], v[36:37], v[40:41]
	v_mov_b32_e32 v18, v145
	v_pk_mul_f32 v[36:37], v[26:27], v[144:145] op_sel:[1,0] op_sel_hi:[0,0]
	v_mov_b32_e32 v23, v19
	v_pk_fma_f32 v[18:19], v[26:27], v[18:19], v[36:37] neg_lo:[0,0,1] neg_hi:[0,0,1]
	v_pk_fma_f32 v[26:27], v[26:27], v[144:145], v[36:37] op_sel:[0,1,0]
	v_mov_b32_e32 v157, v9
	v_pk_fma_f32 v[4:5], v[166:167], v[168:169], v[4:5] neg_lo:[0,0,1] neg_hi:[0,0,1]
	v_mov_b32_e32 v19, v27
	v_pk_fma_f32 v[32:33], v[32:33], v[96:97], v[146:147]
	v_pk_fma_f32 v[30:31], v[174:175], v[176:177], v[30:31] neg_lo:[0,0,1] neg_hi:[0,0,1]
	v_pk_add_f32 v[22:23], v[0:1], v[22:23] neg_lo:[0,1] neg_hi:[0,1]
	v_pk_add_f32 v[18:19], v[156:157], v[18:19] neg_lo:[0,1] neg_hi:[0,1]
	;; [unrolled: 1-line block ×4, first 2 shown]
	v_pk_fma_f32 v[26:27], v[38:39], v[42:43], v[100:101]
	v_mov_b32_e32 v13, v34
	v_mov_b32_e32 v99, v25
	v_pk_add_f32 v[24:25], v[22:23], v[18:19]
	v_pk_add_f32 v[34:35], v[22:23], v[18:19] neg_lo:[0,1] neg_hi:[0,1]
	v_pk_add_f32 v[36:37], v[30:31], v[32:33]
	v_pk_add_f32 v[38:39], v[30:31], v[32:33] neg_lo:[0,1] neg_hi:[0,1]
	v_mov_b32_e32 v25, v35
	v_mov_b32_e32 v37, v39
	s_mov_b32 s0, 0x3f3504f3
	v_pk_mul_f32 v[42:43], v[36:37], s[0:1] op_sel_hi:[1,0]
	v_pk_fma_f32 v[94:95], v[36:37], s[0:1], v[24:25] op_sel_hi:[1,0,1]
	v_pk_fma_f32 v[8:9], v[102:103], v[150:151], v[160:161]
	v_pk_fma_f32 v[2:3], v[162:163], v[164:165], v[2:3] neg_lo:[0,0,1] neg_hi:[0,0,1]
	v_pk_fma_f32 v[28:29], v[170:171], v[172:173], v[28:29] neg_lo:[0,0,1] neg_hi:[0,0,1]
	v_pk_add_f32 v[96:97], v[94:95], v[42:43] op_sel:[0,1] op_sel_hi:[1,0]
	v_pk_add_f32 v[42:43], v[94:95], v[42:43] op_sel:[0,1] op_sel_hi:[1,0] neg_lo:[0,1] neg_hi:[0,1]
	v_pk_mul_f32 v[20:21], v[20:21], v[6:7]
	v_pk_mul_f32 v[16:17], v[16:17], v[14:15]
	v_pk_add_f32 v[26:27], v[8:9], v[26:27] neg_lo:[0,1] neg_hi:[0,1]
	v_pk_add_f32 v[28:29], v[2:3], v[28:29] neg_lo:[0,1] neg_hi:[0,1]
	v_fma_f32 v93, v35, 2.0, -v43
	v_pk_fma_f32 v[34:35], v[152:153], v[6:7], v[20:21] op_sel:[0,0,1] op_sel_hi:[1,1,0]
	v_pk_fma_f32 v[6:7], v[152:153], v[6:7], v[20:21] op_sel:[0,0,1] op_sel_hi:[1,1,0] neg_lo:[0,0,1] neg_hi:[0,0,1]
	v_pk_fma_f32 v[20:21], v[104:105], v[14:15], v[16:17] op_sel:[0,0,1] op_sel_hi:[1,1,0]
	v_pk_fma_f32 v[14:15], v[104:105], v[14:15], v[16:17] op_sel:[0,0,1] op_sel_hi:[1,1,0] neg_lo:[0,0,1] neg_hi:[0,0,1]
	v_pk_fma_f32 v[16:17], v[156:157], 2.0, v[18:19] op_sel_hi:[1,0,1] neg_lo:[0,0,1] neg_hi:[0,0,1]
	v_mov_b32_e32 v18, v10
	v_mov_b32_e32 v19, v5
	;; [unrolled: 1-line block ×6, first 2 shown]
	v_pk_fma_f32 v[4:5], v[10:11], 2.0, v[4:5] op_sel_hi:[1,0,1] neg_lo:[0,0,1] neg_hi:[0,0,1]
	v_mov_b32_e32 v10, v8
	v_mov_b32_e32 v11, v3
	;; [unrolled: 1-line block ×6, first 2 shown]
	v_pk_fma_f32 v[2:3], v[8:9], 2.0, v[2:3] op_sel_hi:[1,0,1] neg_lo:[0,0,1] neg_hi:[0,0,1]
	v_mov_b32_e32 v8, v34
	v_mov_b32_e32 v9, v20
	;; [unrolled: 1-line block ×4, first 2 shown]
	v_pk_add_f32 v[8:9], v[8:9], v[12:13] neg_lo:[0,1] neg_hi:[0,1]
	v_pk_add_f32 v[6:7], v[6:7], v[98:99] neg_lo:[0,1] neg_hi:[0,1]
	v_pk_add_f32 v[38:39], v[28:29], v[26:27]
	v_pk_add_f32 v[40:41], v[28:29], v[26:27] neg_lo:[0,1] neg_hi:[0,1]
	v_mov_b32_e32 v97, v43
	v_mov_b32_e32 v21, v15
	;; [unrolled: 1-line block ×10, first 2 shown]
	v_pk_fma_f32 v[0:1], v[0:1], 2.0, v[22:23] op_sel_hi:[1,0,1] neg_lo:[0,0,1] neg_hi:[0,0,1]
	v_pk_fma_f32 v[18:19], v[18:19], 2.0, v[42:43] op_sel_hi:[1,0,1] neg_lo:[0,0,1] neg_hi:[0,0,1]
	;; [unrolled: 1-line block ×5, first 2 shown]
	v_pk_add_f32 v[16:17], v[0:1], v[16:17] op_sel:[0,1] op_sel_hi:[1,0] neg_lo:[0,1] neg_hi:[0,1]
	v_pk_add_f32 v[4:5], v[18:19], v[4:5] neg_lo:[0,1] neg_hi:[0,1]
	v_pk_add_f32 v[2:3], v[10:11], v[2:3] neg_lo:[0,1] neg_hi:[0,1]
	;; [unrolled: 1-line block ×3, first 2 shown]
	v_pk_add_f32 v[26:27], v[6:7], v[8:9]
	v_pk_add_f32 v[6:7], v[6:7], v[8:9] neg_lo:[0,1] neg_hi:[0,1]
	v_mov_b32_e32 v39, v41
	v_pk_fma_f32 v[0:1], v[0:1], 2.0, v[16:17] op_sel_hi:[1,0,1] neg_lo:[0,0,1] neg_hi:[0,0,1]
	v_pk_fma_f32 v[18:19], v[18:19], 2.0, v[4:5] op_sel_hi:[1,0,1] neg_lo:[0,0,1] neg_hi:[0,0,1]
	;; [unrolled: 1-line block ×4, first 2 shown]
	v_mov_b32_e32 v27, v7
	v_pk_add_f32 v[6:7], v[0:1], v[18:19] neg_lo:[0,1] neg_hi:[0,1]
	v_pk_add_f32 v[8:9], v[10:11], v[14:15] neg_lo:[0,1] neg_hi:[0,1]
	v_pk_mul_f32 v[14:15], v[26:27], s[0:1] op_sel_hi:[1,0]
	v_pk_fma_f32 v[18:19], v[26:27], s[0:1], v[38:39] op_sel_hi:[1,0,1]
	s_mov_b32 s2, 0x3f6c835e
	v_pk_add_f32 v[28:29], v[18:19], v[14:15] op_sel:[0,1] op_sel_hi:[1,0]
	v_pk_add_f32 v[14:15], v[18:19], v[14:15] op_sel:[0,1] op_sel_hi:[1,0] neg_lo:[0,1] neg_hi:[0,1]
	s_mov_b32 s4, 0x3ec3ef15
	v_mov_b32_e32 v29, v15
	v_fma_f32 v40, v24, 2.0, -v96
	v_pk_fma_f32 v[30:31], v[28:29], s[2:3], v[96:97] op_sel_hi:[1,0,1]
	v_pk_mul_f32 v[34:35], v[28:29], s[4:5] op_sel_hi:[1,0]
	v_pk_fma_f32 v[22:23], v[22:23], 2.0, v[24:25] op_sel_hi:[1,0,1] neg_lo:[0,0,1] neg_hi:[0,0,1]
	v_pk_fma_f32 v[24:25], v[42:43], 2.0, v[36:37] op_sel_hi:[1,0,1] neg_lo:[0,0,1] neg_hi:[0,0,1]
	;; [unrolled: 1-line block ×4, first 2 shown]
	v_fma_f32 v18, v38, 2.0, -v28
	v_pk_add_f32 v[28:29], v[30:31], v[34:35] op_sel:[0,1] op_sel_hi:[1,0]
	v_pk_add_f32 v[30:31], v[30:31], v[34:35] op_sel:[0,1] op_sel_hi:[1,0] neg_lo:[0,1] neg_hi:[0,1]
	v_pk_mul_f32 v[34:35], v[24:25], s[0:1] op_sel_hi:[1,0]
	v_pk_fma_f32 v[24:25], v[24:25], s[0:1], v[22:23] op_sel_hi:[1,0,1] neg_lo:[1,0,0] neg_hi:[1,0,0]
	v_pk_mul_f32 v[26:27], v[12:13], s[0:1] op_sel_hi:[1,0]
	v_pk_fma_f32 v[12:13], v[12:13], s[0:1], v[32:33] op_sel_hi:[1,0,1] neg_lo:[1,0,0] neg_hi:[1,0,0]
	v_pk_add_f32 v[36:37], v[24:25], v[34:35] op_sel:[0,1] op_sel_hi:[1,0]
	v_pk_add_f32 v[24:25], v[24:25], v[34:35] op_sel:[0,1] op_sel_hi:[1,0] neg_lo:[0,1] neg_hi:[0,1]
	v_pk_add_f32 v[34:35], v[12:13], v[26:27] op_sel:[0,1] op_sel_hi:[1,0]
	v_pk_add_f32 v[12:13], v[12:13], v[26:27] op_sel:[0,1] op_sel_hi:[1,0] neg_lo:[0,1] neg_hi:[0,1]
	v_mov_b32_e32 v37, v25
	v_mov_b32_e32 v35, v13
	v_pk_fma_f32 v[22:23], v[22:23], 2.0, v[36:37] op_sel_hi:[1,0,1] neg_lo:[0,0,1] neg_hi:[0,0,1]
	v_pk_fma_f32 v[26:27], v[32:33], 2.0, v[34:35] op_sel_hi:[1,0,1] neg_lo:[0,0,1] neg_hi:[0,0,1]
	;; [unrolled: 1-line block ×3, first 2 shown]
	v_pk_fma_f32 v[32:33], v[26:27], s[2:3], v[22:23] op_sel_hi:[1,0,1] neg_lo:[1,0,0] neg_hi:[1,0,0]
	v_pk_mul_f32 v[26:27], v[26:27], s[4:5] op_sel_hi:[1,0]
	v_pk_fma_f32 v[10:11], v[10:11], 2.0, v[8:9] op_sel_hi:[1,0,1] neg_lo:[0,0,1] neg_hi:[0,0,1]
	v_pk_add_f32 v[38:39], v[32:33], v[26:27] op_sel:[0,1] op_sel_hi:[1,0]
	v_pk_add_f32 v[26:27], v[32:33], v[26:27] op_sel:[0,1] op_sel_hi:[1,0] neg_lo:[0,1] neg_hi:[0,1]
	v_pk_add_f32 v[10:11], v[0:1], v[10:11] neg_lo:[0,1] neg_hi:[0,1]
	v_mov_b32_e32 v39, v27
	v_pk_fma_f32 v[0:1], v[0:1], 2.0, v[10:11] op_sel_hi:[1,0,1] neg_lo:[0,0,1] neg_hi:[0,0,1]
	v_pk_fma_f32 v[22:23], v[22:23], 2.0, v[38:39] op_sel_hi:[1,0,1] neg_lo:[0,0,1] neg_hi:[0,0,1]
	s_waitcnt lgkmcnt(0)
	; wave barrier
	ds_write2_b64 v184, v[0:1], v[22:23] offset1:18
	v_pk_add_f32 v[0:1], v[16:17], v[4:5] op_sel:[0,1] op_sel_hi:[1,0]
	v_pk_add_f32 v[4:5], v[16:17], v[4:5] op_sel:[0,1] op_sel_hi:[1,0] neg_lo:[0,1] neg_hi:[0,1]
	v_fma_f32 v19, v41, 2.0, -v15
	v_mov_b32_e32 v1, v5
	v_pk_fma_f32 v[4:5], v[16:17], 2.0, v[0:1] op_sel_hi:[1,0,1] neg_lo:[0,0,1] neg_hi:[0,0,1]
	v_pk_add_f32 v[16:17], v[2:3], v[20:21] op_sel:[0,1] op_sel_hi:[1,0]
	v_pk_add_f32 v[20:21], v[2:3], v[20:21] op_sel:[0,1] op_sel_hi:[1,0] neg_lo:[0,1] neg_hi:[0,1]
	v_fmamk_f32 v14, v18, 0xbec3ef15, v40
	v_mov_b32_e32 v17, v21
	v_pk_fma_f32 v[2:3], v[2:3], 2.0, v[16:17] op_sel_hi:[1,0,1] neg_lo:[0,0,1] neg_hi:[0,0,1]
	v_fmamk_f32 v15, v19, 0xbec3ef15, v93
	v_pk_mul_f32 v[20:21], v[2:3], s[0:1] op_sel_hi:[1,0]
	v_pk_fma_f32 v[2:3], v[2:3], s[0:1], v[4:5] op_sel_hi:[1,0,1] neg_lo:[1,0,0] neg_hi:[1,0,0]
	v_fmac_f32_e32 v14, 0x3f6c835e, v19
	v_pk_add_f32 v[22:23], v[2:3], v[20:21] op_sel:[0,1] op_sel_hi:[1,0]
	v_pk_add_f32 v[2:3], v[2:3], v[20:21] op_sel:[0,1] op_sel_hi:[1,0] neg_lo:[0,1] neg_hi:[0,1]
	v_fmac_f32_e32 v15, 0xbf6c835e, v18
	v_mov_b32_e32 v23, v3
	v_fma_f32 v18, v40, 2.0, -v14
	v_fma_f32 v19, v93, 2.0, -v15
	v_pk_fma_f32 v[2:3], v[4:5], 2.0, v[22:23] op_sel_hi:[1,0,1] neg_lo:[0,0,1] neg_hi:[0,0,1]
	v_fmamk_f32 v26, v34, 0x3ec3ef15, v36
	v_fmamk_f32 v27, v13, 0x3ec3ef15, v25
	ds_write2_b64 v184, v[2:3], v[18:19] offset0:36 offset1:54
	v_pk_add_f32 v[2:3], v[6:7], v[8:9] op_sel:[0,1] op_sel_hi:[1,0]
	v_pk_add_f32 v[4:5], v[6:7], v[8:9] op_sel:[0,1] op_sel_hi:[1,0] neg_lo:[0,1] neg_hi:[0,1]
	v_fmac_f32_e32 v26, 0x3f6c835e, v13
	v_fmac_f32_e32 v27, 0xbf6c835e, v34
	v_mov_b32_e32 v3, v5
	v_fma_f32 v12, v36, 2.0, -v26
	v_fma_f32 v13, v25, 2.0, -v27
	v_pk_fma_f32 v[4:5], v[6:7], 2.0, v[2:3] op_sel_hi:[1,0,1] neg_lo:[0,0,1] neg_hi:[0,0,1]
	ds_write2_b64 v184, v[4:5], v[12:13] offset0:72 offset1:90
	v_pk_mul_f32 v[4:5], v[16:17], s[0:1] op_sel_hi:[1,0]
	v_pk_fma_f32 v[6:7], v[16:17], s[0:1], v[0:1] op_sel_hi:[1,0,1]
	v_mov_b32_e32 v29, v31
	v_pk_add_f32 v[8:9], v[6:7], v[4:5] op_sel:[0,1] op_sel_hi:[1,0]
	v_pk_add_f32 v[4:5], v[6:7], v[4:5] op_sel:[0,1] op_sel_hi:[1,0] neg_lo:[0,1] neg_hi:[0,1]
	v_mov_b32_e32 v88, v56
	v_mov_b32_e32 v9, v5
	v_pk_fma_f32 v[0:1], v[0:1], 2.0, v[8:9] op_sel_hi:[1,0,1] neg_lo:[0,0,1] neg_hi:[0,0,1]
	v_pk_fma_f32 v[4:5], v[96:97], 2.0, v[28:29] op_sel_hi:[1,0,1] neg_lo:[0,0,1] neg_hi:[0,0,1]
	ds_write2_b64 v184, v[0:1], v[4:5] offset0:108 offset1:126
	ds_write2_b64 v184, v[10:11], v[38:39] offset0:144 offset1:162
	;; [unrolled: 1-line block ×4, first 2 shown]
	v_add_u32_e32 v0, 0x400, v184
	ds_write2_b64 v0, v[8:9], v[28:29] offset0:124 offset1:142
	s_waitcnt lgkmcnt(0)
	; wave barrier
	s_waitcnt lgkmcnt(0)
	ds_read2_b64 v[20:23], v106 offset1:54
	ds_read2_b64 v[0:3], v68 offset0:88 offset1:160
	ds_read2_b64 v[24:27], v92 offset0:64 offset1:118
	;; [unrolled: 1-line block ×6, first 2 shown]
	ds_read_b64 v[32:33], v106 offset:6336
	v_mov_b32_e32 v89, v56
	v_mov_b32_e32 v56, v57
	;; [unrolled: 1-line block ×27, first 2 shown]
	s_and_saveexec_b64 s[0:1], vcc
	s_cbranch_execz .LBB0_27
; %bb.26:
	ds_read_b64 v[28:29], v106 offset:2160
	ds_read_b64 v[50:51], v106 offset:4464
	;; [unrolled: 1-line block ×3, first 2 shown]
	s_waitcnt lgkmcnt(2)
	v_mov_b32_e32 v31, v29
.LBB0_27:
	s_or_b64 exec, exec, s[0:1]
	s_waitcnt lgkmcnt(6)
	v_pk_mul_f32 v[36:37], v[56:57], v[2:3]
	s_waitcnt lgkmcnt(5)
	v_pk_mul_f32 v[38:39], v[58:59], v[24:25]
	;; [unrolled: 2-line block ×4, first 2 shown]
	v_pk_fma_f32 v[68:69], v[88:89], v[2:3], v[36:37] op_sel:[0,0,1] op_sel_hi:[1,1,0]
	v_pk_fma_f32 v[2:3], v[88:89], v[2:3], v[36:37] op_sel:[0,0,1] op_sel_hi:[1,1,0] neg_lo:[0,0,1] neg_hi:[0,0,1]
	s_mov_b32 s0, 0x3f5db3d7
	v_mov_b32_e32 v69, v3
	v_pk_fma_f32 v[2:3], v[86:87], v[24:25], v[38:39] op_sel:[0,0,1] op_sel_hi:[1,1,0]
	v_pk_fma_f32 v[24:25], v[86:87], v[24:25], v[38:39] op_sel:[0,0,1] op_sel_hi:[1,1,0] neg_lo:[0,0,1] neg_hi:[0,0,1]
	v_pk_mul_f32 v[40:41], v[60:61], v[16:17]
	v_mov_b32_e32 v3, v25
	v_pk_add_f32 v[24:25], v[20:21], v[68:69]
	v_pk_add_f32 v[36:37], v[68:69], v[2:3]
	;; [unrolled: 1-line block ×3, first 2 shown]
	v_pk_add_f32 v[2:3], v[68:69], v[2:3] neg_lo:[0,1] neg_hi:[0,1]
	v_pk_fma_f32 v[20:21], v[36:37], 0.5, v[20:21] op_sel_hi:[1,0,1] neg_lo:[1,0,0] neg_hi:[1,0,0]
	v_pk_mul_f32 v[2:3], v[2:3], s[0:1] op_sel_hi:[1,0]
	v_pk_mul_f32 v[42:43], v[62:63], v[26:27]
	v_pk_add_f32 v[36:37], v[20:21], v[2:3] op_sel:[0,1] op_sel_hi:[1,0] neg_lo:[0,1] neg_hi:[0,1]
	v_pk_add_f32 v[2:3], v[20:21], v[2:3] op_sel:[0,1] op_sel_hi:[1,0]
	v_mov_b32_e32 v20, v36
	v_mov_b32_e32 v21, v3
	;; [unrolled: 1-line block ×3, first 2 shown]
	ds_write_b64 v106, v[2:3] offset:4608
	v_pk_fma_f32 v[2:3], v[84:85], v[16:17], v[40:41] op_sel:[0,0,1] op_sel_hi:[1,1,0]
	v_pk_fma_f32 v[16:17], v[84:85], v[16:17], v[40:41] op_sel:[0,0,1] op_sel_hi:[1,1,0] neg_lo:[0,0,1] neg_hi:[0,0,1]
	ds_write_b64 v106, v[20:21] offset:2304
	v_mov_b32_e32 v3, v17
	v_pk_fma_f32 v[16:17], v[82:83], v[26:27], v[42:43] op_sel:[0,0,1] op_sel_hi:[1,1,0]
	v_pk_fma_f32 v[20:21], v[82:83], v[26:27], v[42:43] op_sel:[0,0,1] op_sel_hi:[1,1,0] neg_lo:[0,0,1] neg_hi:[0,0,1]
	v_pk_mul_f32 v[58:59], v[66:67], v[12:13]
	v_mov_b32_e32 v17, v21
	v_pk_add_f32 v[20:21], v[22:23], v[2:3]
	v_pk_mul_f32 v[60:61], v[72:73], v[4:5]
	v_pk_add_f32 v[20:21], v[20:21], v[16:17]
	ds_write2_b64 v106, v[24:25], v[20:21] offset1:54
	v_pk_add_f32 v[20:21], v[2:3], v[16:17]
	v_pk_add_f32 v[2:3], v[2:3], v[16:17] neg_lo:[0,1] neg_hi:[0,1]
	v_pk_fma_f32 v[20:21], v[20:21], 0.5, v[22:23] op_sel_hi:[1,0,1] neg_lo:[1,0,0] neg_hi:[1,0,0]
	v_pk_mul_f32 v[2:3], v[2:3], s[0:1] op_sel_hi:[1,0]
	v_pk_mul_f32 v[62:63], v[74:75], v[14:15]
	v_pk_add_f32 v[16:17], v[20:21], v[2:3] op_sel:[0,1] op_sel_hi:[1,0] neg_lo:[0,1] neg_hi:[0,1]
	v_pk_add_f32 v[2:3], v[20:21], v[2:3] op_sel:[0,1] op_sel_hi:[1,0]
	v_mov_b32_e32 v20, v16
	v_mov_b32_e32 v21, v3
	;; [unrolled: 1-line block ×3, first 2 shown]
	v_pk_fma_f32 v[16:17], v[80:81], v[18:19], v[56:57] op_sel:[0,0,1] op_sel_hi:[1,1,0]
	v_pk_fma_f32 v[18:19], v[80:81], v[18:19], v[56:57] op_sel:[0,0,1] op_sel_hi:[1,1,0] neg_lo:[0,0,1] neg_hi:[0,0,1]
	s_waitcnt lgkmcnt(3)
	v_pk_mul_f32 v[66:67], v[70:71], v[32:33]
	v_mov_b32_e32 v17, v19
	v_pk_fma_f32 v[18:19], v[78:79], v[12:13], v[58:59] op_sel:[0,0,1] op_sel_hi:[1,1,0]
	v_pk_fma_f32 v[12:13], v[78:79], v[12:13], v[58:59] op_sel:[0,0,1] op_sel_hi:[1,1,0] neg_lo:[0,0,1] neg_hi:[0,0,1]
	s_nop 0
	v_mov_b32_e32 v19, v13
	v_pk_add_f32 v[12:13], v[8:9], v[16:17]
	v_pk_add_f32 v[22:23], v[16:17], v[18:19]
	v_pk_add_f32 v[16:17], v[16:17], v[18:19] neg_lo:[0,1] neg_hi:[0,1]
	v_pk_fma_f32 v[8:9], v[22:23], 0.5, v[8:9] op_sel_hi:[1,0,1] neg_lo:[1,0,0] neg_hi:[1,0,0]
	v_pk_mul_f32 v[16:17], v[16:17], s[0:1] op_sel_hi:[1,0]
	v_pk_add_f32 v[12:13], v[12:13], v[18:19]
	v_pk_add_f32 v[18:19], v[8:9], v[16:17] op_sel:[0,1] op_sel_hi:[1,0] neg_lo:[0,1] neg_hi:[0,1]
	v_pk_add_f32 v[8:9], v[8:9], v[16:17] op_sel:[0,1] op_sel_hi:[1,0]
	v_mov_b32_e32 v16, v18
	v_mov_b32_e32 v17, v9
	;; [unrolled: 1-line block ×3, first 2 shown]
	ds_write2_b64 v92, v[2:3], v[8:9] offset0:118 offset1:172
	v_pk_fma_f32 v[2:3], v[76:77], v[4:5], v[60:61] op_sel:[0,0,1] op_sel_hi:[1,1,0]
	v_pk_fma_f32 v[4:5], v[76:77], v[4:5], v[60:61] op_sel:[0,0,1] op_sel_hi:[1,1,0] neg_lo:[0,0,1] neg_hi:[0,0,1]
	v_pk_fma_f32 v[8:9], v[54:55], v[14:15], v[62:63] op_sel:[0,0,1] op_sel_hi:[1,1,0] neg_lo:[0,0,1] neg_hi:[0,0,1]
	v_mov_b32_e32 v3, v5
	v_pk_fma_f32 v[4:5], v[54:55], v[14:15], v[62:63] op_sel:[0,0,1] op_sel_hi:[1,1,0]
	ds_write2_b64 v90, v[20:21], v[16:17] offset0:86 offset1:140
	v_mov_b32_e32 v5, v9
	v_pk_add_f32 v[8:9], v[10:11], v[2:3]
	s_nop 0
	v_pk_add_f32 v[8:9], v[8:9], v[4:5]
	ds_write2_b64 v106, v[12:13], v[8:9] offset0:108 offset1:162
	v_pk_add_f32 v[8:9], v[2:3], v[4:5]
	v_pk_add_f32 v[2:3], v[2:3], v[4:5] neg_lo:[0,1] neg_hi:[0,1]
	v_pk_fma_f32 v[8:9], v[8:9], 0.5, v[10:11] op_sel_hi:[1,0,1] neg_lo:[1,0,0] neg_hi:[1,0,0]
	v_pk_mul_f32 v[2:3], v[2:3], s[0:1] op_sel_hi:[1,0]
	v_pk_fma_f32 v[10:11], v[34:35], v[32:33], v[66:67] op_sel:[0,0,1] op_sel_hi:[1,1,0] neg_lo:[0,0,1] neg_hi:[0,0,1]
	v_pk_add_f32 v[4:5], v[8:9], v[2:3] op_sel:[0,1] op_sel_hi:[1,0] neg_lo:[0,1] neg_hi:[0,1]
	v_pk_add_f32 v[2:3], v[8:9], v[2:3] op_sel:[0,1] op_sel_hi:[1,0]
	v_mov_b32_e32 v8, v4
	v_mov_b32_e32 v9, v3
	;; [unrolled: 1-line block ×3, first 2 shown]
	v_pk_fma_f32 v[4:5], v[52:53], v[6:7], v[64:65] op_sel:[0,0,1] op_sel_hi:[1,1,0]
	v_pk_fma_f32 v[6:7], v[52:53], v[6:7], v[64:65] op_sel:[0,0,1] op_sel_hi:[1,1,0] neg_lo:[0,0,1] neg_hi:[0,0,1]
	s_nop 0
	v_mov_b32_e32 v5, v7
	v_pk_fma_f32 v[6:7], v[34:35], v[32:33], v[66:67] op_sel:[0,0,1] op_sel_hi:[1,1,0]
	s_nop 0
	v_mov_b32_e32 v7, v11
	v_pk_add_f32 v[10:11], v[0:1], v[4:5]
	s_nop 0
	v_pk_add_f32 v[10:11], v[10:11], v[6:7]
	ds_write_b64 v106, v[10:11] offset:1728
	v_pk_add_f32 v[10:11], v[4:5], v[6:7]
	v_pk_add_f32 v[4:5], v[4:5], v[6:7] neg_lo:[0,1] neg_hi:[0,1]
	v_pk_fma_f32 v[0:1], v[10:11], 0.5, v[0:1] op_sel_hi:[1,0,1] neg_lo:[1,0,0] neg_hi:[1,0,0]
	v_pk_mul_f32 v[4:5], v[4:5], s[0:1] op_sel_hi:[1,0]
	s_nop 0
	v_pk_add_f32 v[6:7], v[0:1], v[4:5] op_sel:[0,1] op_sel_hi:[1,0] neg_lo:[0,1] neg_hi:[0,1]
	v_pk_add_f32 v[0:1], v[0:1], v[4:5] op_sel:[0,1] op_sel_hi:[1,0]
	v_mov_b32_e32 v4, v6
	v_mov_b32_e32 v5, v1
	;; [unrolled: 1-line block ×3, first 2 shown]
	ds_write2_b64 v90, v[8:9], v[4:5] offset0:194 offset1:248
	ds_write2_b64 v91, v[2:3], v[0:1] offset0:98 offset1:152
	s_and_saveexec_b64 s[2:3], vcc
	s_cbranch_execz .LBB0_29
; %bb.28:
	v_pk_mul_f32 v[0:1], v[44:45], v[50:51] op_sel:[0,1]
	v_pk_mul_f32 v[2:3], v[46:47], v[48:49] op_sel:[0,1]
	v_pk_fma_f32 v[4:5], v[44:45], v[50:51], v[0:1] op_sel:[0,0,1] op_sel_hi:[1,1,0]
	v_pk_fma_f32 v[0:1], v[44:45], v[50:51], v[0:1] op_sel:[0,0,1] op_sel_hi:[1,0,0] neg_lo:[1,0,0] neg_hi:[1,0,0]
	v_mov_b32_e32 v29, v31
	v_mov_b32_e32 v5, v1
	v_pk_fma_f32 v[0:1], v[46:47], v[48:49], v[2:3] op_sel:[0,0,1] op_sel_hi:[1,1,0]
	v_pk_fma_f32 v[2:3], v[46:47], v[48:49], v[2:3] op_sel:[0,0,1] op_sel_hi:[1,0,0] neg_lo:[1,0,0] neg_hi:[1,0,0]
	s_nop 0
	v_mov_b32_e32 v1, v3
	v_pk_add_f32 v[2:3], v[28:29], v[4:5]
	s_nop 0
	v_pk_add_f32 v[2:3], v[2:3], v[0:1]
	ds_write_b64 v106, v[2:3] offset:2160
	v_pk_add_f32 v[2:3], v[4:5], v[0:1]
	v_pk_add_f32 v[0:1], v[4:5], v[0:1] neg_lo:[0,1] neg_hi:[0,1]
	v_pk_fma_f32 v[2:3], -0.5, v[2:3], v[28:29] op_sel_hi:[0,1,1]
	v_pk_mul_f32 v[0:1], v[0:1], s[0:1] op_sel_hi:[1,0]
	s_nop 0
	v_pk_add_f32 v[4:5], v[2:3], v[0:1] op_sel:[0,1] op_sel_hi:[1,0] neg_lo:[0,1] neg_hi:[0,1]
	v_pk_add_f32 v[0:1], v[2:3], v[0:1] op_sel:[0,1] op_sel_hi:[1,0]
	v_mov_b32_e32 v2, v4
	v_mov_b32_e32 v3, v1
	;; [unrolled: 1-line block ×3, first 2 shown]
	ds_write_b64 v106, v[2:3] offset:4464
	ds_write_b64 v106, v[0:1] offset:6768
.LBB0_29:
	s_or_b64 exec, exec, s[2:3]
	s_waitcnt lgkmcnt(0)
	; wave barrier
	s_waitcnt lgkmcnt(0)
	ds_read2_b64 v[0:3], v106 offset1:54
	v_mad_u64_u32 v[10:11], s[0:1], s10, v134, 0
	v_mov_b32_e32 v4, v11
	v_mad_u64_u32 v[4:5], s[0:1], s11, v134, v[4:5]
	v_mov_b32_e32 v11, v4
	s_waitcnt lgkmcnt(0)
	v_mul_f32_e32 v4, v143, v1
	v_fmac_f32_e32 v4, v142, v0
	v_mul_f32_e32 v0, v143, v0
	s_mov_b32 s0, 0xbda12f68
	v_fma_f32 v0, v142, v1, -v0
	s_mov_b32 s1, 0x3f52f684
	v_cvt_f64_f32_e32 v[0:1], v0
	v_cvt_f64_f32_e32 v[4:5], v4
	v_mul_f64 v[0:1], v[0:1], s[0:1]
	v_mul_f64 v[4:5], v[4:5], s[0:1]
	v_cvt_f32_f64_e32 v13, v[0:1]
	v_mad_u64_u32 v[0:1], s[2:3], s8, v126, 0
	v_cvt_f32_f64_e32 v12, v[4:5]
	v_mov_b32_e32 v4, v1
	v_add_u32_e32 v1, 0x400, v106
	v_mad_u64_u32 v[14:15], s[2:3], s9, v126, v[4:5]
	ds_read2_b64 v[4:7], v1 offset0:88 offset1:160
	v_mov_b32_e32 v8, s12
	v_mov_b32_e32 v9, s13
	v_lshl_add_u64 v[10:11], v[10:11], 3, v[8:9]
	v_mov_b32_e32 v1, v14
	s_waitcnt lgkmcnt(0)
	v_mul_f32_e32 v8, v141, v7
	v_fmac_f32_e32 v8, v140, v6
	v_mul_f32_e32 v6, v141, v6
	v_fma_f32 v6, v140, v7, -v6
	v_cvt_f64_f32_e32 v[8:9], v8
	v_cvt_f64_f32_e32 v[6:7], v6
	v_lshl_add_u64 v[0:1], v[0:1], 3, v[10:11]
	v_mul_f64 v[8:9], v[8:9], s[0:1]
	v_mul_f64 v[6:7], v[6:7], s[0:1]
	v_add_u32_e32 v16, 0x1000, v106
	global_store_dwordx2 v[0:1], v[12:13], off
	v_cvt_f32_f64_e32 v12, v[8:9]
	v_cvt_f32_f64_e32 v13, v[6:7]
	ds_read2_b64 v[6:9], v16 offset0:64 offset1:118
	s_mul_i32 s2, s9, 0x120
	s_mul_hi_u32 s3, s8, 0x120
	s_add_i32 s3, s3, s2
	s_mul_i32 s2, s8, 0x120
	s_lshl_b64 s[2:3], s[2:3], 3
	v_lshl_add_u64 v[0:1], v[0:1], 0, s[2:3]
	global_store_dwordx2 v[0:1], v[12:13], off
	s_waitcnt lgkmcnt(0)
	v_mul_f32_e32 v12, v139, v7
	v_fmac_f32_e32 v12, v138, v6
	v_mul_f32_e32 v6, v139, v6
	v_fma_f32 v6, v138, v7, -v6
	v_cvt_f64_f32_e32 v[12:13], v12
	v_cvt_f64_f32_e32 v[6:7], v6
	v_mul_f64 v[12:13], v[12:13], s[0:1]
	v_mul_f64 v[6:7], v[6:7], s[0:1]
	v_cvt_f32_f64_e32 v12, v[12:13]
	v_cvt_f32_f64_e32 v13, v[6:7]
	v_mad_u64_u32 v[6:7], s[4:5], s8, v107, 0
	v_mov_b32_e32 v14, v7
	v_mad_u64_u32 v[14:15], s[4:5], s9, v107, v[14:15]
	v_mov_b32_e32 v7, v14
	v_lshl_add_u64 v[6:7], v[6:7], 3, v[10:11]
	global_store_dwordx2 v[6:7], v[12:13], off
	v_mul_f32_e32 v6, v137, v3
	v_fmac_f32_e32 v6, v136, v2
	v_mul_f32_e32 v2, v137, v2
	v_fma_f32 v2, v136, v3, -v2
	v_cvt_f64_f32_e32 v[6:7], v6
	v_cvt_f64_f32_e32 v[2:3], v2
	v_mul_f64 v[6:7], v[6:7], s[0:1]
	v_mul_f64 v[2:3], v[2:3], s[0:1]
	v_cvt_f32_f64_e32 v6, v[6:7]
	v_cvt_f32_f64_e32 v7, v[2:3]
	v_mov_b32_e32 v2, 0xfffff8b0
	v_add_u32_e32 v14, 0x800, v106
	v_mad_u64_u32 v[10:11], s[4:5], s8, v2, v[0:1]
	ds_read2_b64 v[0:3], v14 offset0:86 offset1:140
	s_mul_i32 s4, s9, 0xfffff8b0
	s_sub_i32 s4, s4, s8
	v_add_u32_e32 v11, s4, v11
	global_store_dwordx2 v[10:11], v[6:7], off
	s_waitcnt lgkmcnt(0)
	v_mul_f32_e32 v6, v131, v1
	v_fmac_f32_e32 v6, v130, v0
	v_mul_f32_e32 v0, v131, v0
	v_fma_f32 v0, v130, v1, -v0
	v_cvt_f64_f32_e32 v[6:7], v6
	v_cvt_f64_f32_e32 v[0:1], v0
	v_mul_f64 v[6:7], v[6:7], s[0:1]
	v_mul_f64 v[0:1], v[0:1], s[0:1]
	v_cvt_f32_f64_e32 v6, v[6:7]
	v_cvt_f32_f64_e32 v7, v[0:1]
	v_lshl_add_u64 v[0:1], v[10:11], 0, s[2:3]
	global_store_dwordx2 v[0:1], v[6:7], off
	v_mul_f32_e32 v6, v133, v9
	v_fmac_f32_e32 v6, v132, v8
	v_cvt_f64_f32_e32 v[6:7], v6
	v_mul_f64 v[6:7], v[6:7], s[0:1]
	v_cvt_f32_f64_e32 v10, v[6:7]
	v_mul_f32_e32 v6, v133, v8
	v_fma_f32 v6, v132, v9, -v6
	v_cvt_f64_f32_e32 v[12:13], v6
	ds_read2_b64 v[6:9], v106 offset0:108 offset1:162
	v_mul_f64 v[12:13], v[12:13], s[0:1]
	v_cvt_f32_f64_e32 v11, v[12:13]
	v_lshl_add_u64 v[0:1], v[0:1], 0, s[2:3]
	global_store_dwordx2 v[0:1], v[10:11], off
	s_waitcnt lgkmcnt(0)
	v_mul_f32_e32 v10, v129, v7
	v_fmac_f32_e32 v10, v128, v6
	v_mul_f32_e32 v6, v129, v6
	s_mul_hi_u32 s5, s8, 0xfffffdf6
	v_fma_f32 v6, v128, v7, -v6
	s_mul_i32 s4, s9, 0xfffffdf6
	s_sub_i32 s5, s5, s8
	v_cvt_f64_f32_e32 v[10:11], v10
	v_cvt_f64_f32_e32 v[6:7], v6
	s_add_i32 s5, s5, s4
	s_mul_i32 s4, s8, 0xfffffdf6
	v_mul_f64 v[10:11], v[10:11], s[0:1]
	v_mul_f64 v[6:7], v[6:7], s[0:1]
	s_lshl_b64 s[6:7], s[4:5], 3
	v_cvt_f32_f64_e32 v10, v[10:11]
	v_cvt_f32_f64_e32 v11, v[6:7]
	v_lshl_add_u64 v[6:7], v[0:1], 0, s[6:7]
	v_mul_f32_e32 v0, v125, v3
	v_fmac_f32_e32 v0, v124, v2
	v_cvt_f64_f32_e32 v[0:1], v0
	v_mul_f64 v[0:1], v[0:1], s[0:1]
	global_store_dwordx2 v[6:7], v[10:11], off
	v_cvt_f32_f64_e32 v10, v[0:1]
	v_mul_f32_e32 v0, v125, v2
	v_fma_f32 v0, v124, v3, -v0
	v_cvt_f64_f32_e32 v[12:13], v0
	ds_read2_b64 v[0:3], v16 offset0:172 offset1:226
	v_mul_f64 v[12:13], v[12:13], s[0:1]
	v_cvt_f32_f64_e32 v11, v[12:13]
	v_lshl_add_u64 v[6:7], v[6:7], 0, s[2:3]
	global_store_dwordx2 v[6:7], v[10:11], off
	s_waitcnt lgkmcnt(0)
	v_mul_f32_e32 v10, v123, v1
	v_fmac_f32_e32 v10, v122, v0
	v_mul_f32_e32 v0, v123, v0
	v_fma_f32 v0, v122, v1, -v0
	v_cvt_f64_f32_e32 v[10:11], v10
	v_cvt_f64_f32_e32 v[0:1], v0
	v_mul_f64 v[10:11], v[10:11], s[0:1]
	v_mul_f64 v[0:1], v[0:1], s[0:1]
	v_cvt_f32_f64_e32 v10, v[10:11]
	v_cvt_f32_f64_e32 v11, v[0:1]
	v_lshl_add_u64 v[0:1], v[6:7], 0, s[2:3]
	v_mul_f32_e32 v6, v121, v9
	v_fmac_f32_e32 v6, v120, v8
	v_cvt_f64_f32_e32 v[6:7], v6
	v_mul_f64 v[6:7], v[6:7], s[0:1]
	global_store_dwordx2 v[0:1], v[10:11], off
	v_cvt_f32_f64_e32 v10, v[6:7]
	v_mul_f32_e32 v6, v121, v8
	v_fma_f32 v6, v120, v9, -v6
	v_cvt_f64_f32_e32 v[12:13], v6
	ds_read2_b64 v[6:9], v14 offset0:194 offset1:248
	v_mul_f64 v[12:13], v[12:13], s[0:1]
	v_cvt_f32_f64_e32 v11, v[12:13]
	v_lshl_add_u64 v[0:1], v[0:1], 0, s[6:7]
	global_store_dwordx2 v[0:1], v[10:11], off
	s_waitcnt lgkmcnt(0)
	v_mul_f32_e32 v10, v119, v7
	v_fmac_f32_e32 v10, v118, v6
	v_mul_f32_e32 v6, v119, v6
	v_fma_f32 v6, v118, v7, -v6
	v_cvt_f64_f32_e32 v[10:11], v10
	v_cvt_f64_f32_e32 v[6:7], v6
	v_mul_f64 v[10:11], v[10:11], s[0:1]
	v_mul_f64 v[6:7], v[6:7], s[0:1]
	v_cvt_f32_f64_e32 v10, v[10:11]
	v_cvt_f32_f64_e32 v11, v[6:7]
	v_mul_f32_e32 v6, v117, v3
	v_fmac_f32_e32 v6, v116, v2
	v_mul_f32_e32 v2, v117, v2
	v_fma_f32 v2, v116, v3, -v2
	v_cvt_f64_f32_e32 v[6:7], v6
	v_cvt_f64_f32_e32 v[2:3], v2
	v_mul_f64 v[6:7], v[6:7], s[0:1]
	v_mul_f64 v[2:3], v[2:3], s[0:1]
	v_cvt_f32_f64_e32 v6, v[6:7]
	v_cvt_f32_f64_e32 v7, v[2:3]
	v_mul_f32_e32 v2, v115, v5
	v_fmac_f32_e32 v2, v114, v4
	v_cvt_f64_f32_e32 v[2:3], v2
	v_mul_f64 v[2:3], v[2:3], s[0:1]
	v_cvt_f32_f64_e32 v2, v[2:3]
	v_mul_f32_e32 v3, v115, v4
	v_fma_f32 v3, v114, v5, -v3
	v_lshl_add_u64 v[0:1], v[0:1], 0, s[2:3]
	v_cvt_f64_f32_e32 v[4:5], v3
	global_store_dwordx2 v[0:1], v[10:11], off
	v_lshl_add_u64 v[0:1], v[0:1], 0, s[2:3]
	v_mul_f64 v[4:5], v[4:5], s[0:1]
	global_store_dwordx2 v[0:1], v[6:7], off
	v_cvt_f32_f64_e32 v3, v[4:5]
	v_lshl_add_u64 v[0:1], v[0:1], 0, s[6:7]
	global_store_dwordx2 v[0:1], v[2:3], off
	v_mul_f32_e32 v2, v113, v9
	v_fmac_f32_e32 v2, v112, v8
	v_cvt_f64_f32_e32 v[2:3], v2
	v_mul_f64 v[2:3], v[2:3], s[0:1]
	v_cvt_f32_f64_e32 v2, v[2:3]
	v_mul_f32_e32 v3, v113, v8
	ds_read_b64 v[6:7], v106 offset:6336
	v_fma_f32 v3, v112, v9, -v3
	v_cvt_f64_f32_e32 v[4:5], v3
	v_mul_f64 v[4:5], v[4:5], s[0:1]
	v_cvt_f32_f64_e32 v3, v[4:5]
	v_lshl_add_u64 v[0:1], v[0:1], 0, s[2:3]
	global_store_dwordx2 v[0:1], v[2:3], off
	s_waitcnt lgkmcnt(0)
	v_mul_f32_e32 v2, v111, v7
	v_fmac_f32_e32 v2, v110, v6
	v_cvt_f64_f32_e32 v[2:3], v2
	v_mul_f64 v[2:3], v[2:3], s[0:1]
	v_cvt_f32_f64_e32 v2, v[2:3]
	v_mul_f32_e32 v3, v111, v6
	v_fma_f32 v3, v110, v7, -v3
	v_cvt_f64_f32_e32 v[4:5], v3
	v_mul_f64 v[4:5], v[4:5], s[0:1]
	s_movk_i32 s10, 0x1000
	v_cvt_f32_f64_e32 v3, v[4:5]
	v_lshl_add_u64 v[0:1], v[0:1], 0, s[2:3]
	global_store_dwordx2 v[0:1], v[2:3], off
	s_and_b64 exec, exec, vcc
	s_cbranch_execz .LBB0_31
; %bb.30:
	global_load_dwordx2 v[2:3], v[108:109], off offset:2160
	ds_read_b64 v[6:7], v106 offset:2160
	ds_read_b64 v[8:9], v106 offset:4464
	;; [unrolled: 1-line block ×3, first 2 shown]
	v_lshl_add_u64 v[0:1], s[4:5], 3, v[0:1]
	v_add_co_u32_e32 v4, vcc, s10, v108
	s_waitcnt vmcnt(0) lgkmcnt(2)
	v_mul_f32_e32 v12, v7, v3
	v_mul_f32_e32 v3, v6, v3
	v_fmac_f32_e32 v12, v6, v2
	v_fma_f32 v6, v2, v7, -v3
	v_cvt_f64_f32_e32 v[2:3], v12
	v_cvt_f64_f32_e32 v[6:7], v6
	v_mul_f64 v[2:3], v[2:3], s[0:1]
	v_mul_f64 v[6:7], v[6:7], s[0:1]
	v_cvt_f32_f64_e32 v2, v[2:3]
	v_cvt_f32_f64_e32 v3, v[6:7]
	v_addc_co_u32_e32 v5, vcc, 0, v109, vcc
	global_store_dwordx2 v[0:1], v[2:3], off
	global_load_dwordx2 v[2:3], v[4:5], off offset:368
	v_lshl_add_u64 v[0:1], v[0:1], 0, s[2:3]
	s_waitcnt vmcnt(0) lgkmcnt(1)
	v_mul_f32_e32 v6, v9, v3
	v_mul_f32_e32 v3, v8, v3
	v_fmac_f32_e32 v6, v8, v2
	v_fma_f32 v7, v2, v9, -v3
	v_cvt_f64_f32_e32 v[2:3], v6
	v_cvt_f64_f32_e32 v[6:7], v7
	v_mul_f64 v[2:3], v[2:3], s[0:1]
	v_mul_f64 v[6:7], v[6:7], s[0:1]
	v_cvt_f32_f64_e32 v2, v[2:3]
	v_cvt_f32_f64_e32 v3, v[6:7]
	global_store_dwordx2 v[0:1], v[2:3], off
	global_load_dwordx2 v[2:3], v[4:5], off offset:2672
	v_lshl_add_u64 v[0:1], v[0:1], 0, s[2:3]
	s_waitcnt vmcnt(0) lgkmcnt(0)
	v_mul_f32_e32 v4, v11, v3
	v_mul_f32_e32 v3, v10, v3
	v_fmac_f32_e32 v4, v10, v2
	v_fma_f32 v5, v2, v11, -v3
	v_cvt_f64_f32_e32 v[2:3], v4
	v_cvt_f64_f32_e32 v[4:5], v5
	v_mul_f64 v[2:3], v[2:3], s[0:1]
	v_mul_f64 v[4:5], v[4:5], s[0:1]
	v_cvt_f32_f64_e32 v2, v[2:3]
	v_cvt_f32_f64_e32 v3, v[4:5]
	global_store_dwordx2 v[0:1], v[2:3], off
.LBB0_31:
	s_endpgm
	.section	.rodata,"a",@progbits
	.p2align	6, 0x0
	.amdhsa_kernel bluestein_single_fwd_len864_dim1_sp_op_CI_CI
		.amdhsa_group_segment_fixed_size 6912
		.amdhsa_private_segment_fixed_size 0
		.amdhsa_kernarg_size 104
		.amdhsa_user_sgpr_count 2
		.amdhsa_user_sgpr_dispatch_ptr 0
		.amdhsa_user_sgpr_queue_ptr 0
		.amdhsa_user_sgpr_kernarg_segment_ptr 1
		.amdhsa_user_sgpr_dispatch_id 0
		.amdhsa_user_sgpr_kernarg_preload_length 0
		.amdhsa_user_sgpr_kernarg_preload_offset 0
		.amdhsa_user_sgpr_private_segment_size 0
		.amdhsa_uses_dynamic_stack 0
		.amdhsa_enable_private_segment 0
		.amdhsa_system_sgpr_workgroup_id_x 1
		.amdhsa_system_sgpr_workgroup_id_y 0
		.amdhsa_system_sgpr_workgroup_id_z 0
		.amdhsa_system_sgpr_workgroup_info 0
		.amdhsa_system_vgpr_workitem_id 0
		.amdhsa_next_free_vgpr 209
		.amdhsa_next_free_sgpr 20
		.amdhsa_accum_offset 212
		.amdhsa_reserve_vcc 1
		.amdhsa_float_round_mode_32 0
		.amdhsa_float_round_mode_16_64 0
		.amdhsa_float_denorm_mode_32 3
		.amdhsa_float_denorm_mode_16_64 3
		.amdhsa_dx10_clamp 1
		.amdhsa_ieee_mode 1
		.amdhsa_fp16_overflow 0
		.amdhsa_tg_split 0
		.amdhsa_exception_fp_ieee_invalid_op 0
		.amdhsa_exception_fp_denorm_src 0
		.amdhsa_exception_fp_ieee_div_zero 0
		.amdhsa_exception_fp_ieee_overflow 0
		.amdhsa_exception_fp_ieee_underflow 0
		.amdhsa_exception_fp_ieee_inexact 0
		.amdhsa_exception_int_div_zero 0
	.end_amdhsa_kernel
	.text
.Lfunc_end0:
	.size	bluestein_single_fwd_len864_dim1_sp_op_CI_CI, .Lfunc_end0-bluestein_single_fwd_len864_dim1_sp_op_CI_CI
                                        ; -- End function
	.section	.AMDGPU.csdata,"",@progbits
; Kernel info:
; codeLenInByte = 14832
; NumSgprs: 26
; NumVgprs: 209
; NumAgprs: 0
; TotalNumVgprs: 209
; ScratchSize: 0
; MemoryBound: 0
; FloatMode: 240
; IeeeMode: 1
; LDSByteSize: 6912 bytes/workgroup (compile time only)
; SGPRBlocks: 3
; VGPRBlocks: 26
; NumSGPRsForWavesPerEU: 26
; NumVGPRsForWavesPerEU: 209
; AccumOffset: 212
; Occupancy: 2
; WaveLimiterHint : 1
; COMPUTE_PGM_RSRC2:SCRATCH_EN: 0
; COMPUTE_PGM_RSRC2:USER_SGPR: 2
; COMPUTE_PGM_RSRC2:TRAP_HANDLER: 0
; COMPUTE_PGM_RSRC2:TGID_X_EN: 1
; COMPUTE_PGM_RSRC2:TGID_Y_EN: 0
; COMPUTE_PGM_RSRC2:TGID_Z_EN: 0
; COMPUTE_PGM_RSRC2:TIDIG_COMP_CNT: 0
; COMPUTE_PGM_RSRC3_GFX90A:ACCUM_OFFSET: 52
; COMPUTE_PGM_RSRC3_GFX90A:TG_SPLIT: 0
	.text
	.p2alignl 6, 3212836864
	.fill 256, 4, 3212836864
	.type	__hip_cuid_5ea404e748f64915,@object ; @__hip_cuid_5ea404e748f64915
	.section	.bss,"aw",@nobits
	.globl	__hip_cuid_5ea404e748f64915
__hip_cuid_5ea404e748f64915:
	.byte	0                               ; 0x0
	.size	__hip_cuid_5ea404e748f64915, 1

	.ident	"AMD clang version 19.0.0git (https://github.com/RadeonOpenCompute/llvm-project roc-6.4.0 25133 c7fe45cf4b819c5991fe208aaa96edf142730f1d)"
	.section	".note.GNU-stack","",@progbits
	.addrsig
	.addrsig_sym __hip_cuid_5ea404e748f64915
	.amdgpu_metadata
---
amdhsa.kernels:
  - .agpr_count:     0
    .args:
      - .actual_access:  read_only
        .address_space:  global
        .offset:         0
        .size:           8
        .value_kind:     global_buffer
      - .actual_access:  read_only
        .address_space:  global
        .offset:         8
        .size:           8
        .value_kind:     global_buffer
      - .actual_access:  read_only
        .address_space:  global
        .offset:         16
        .size:           8
        .value_kind:     global_buffer
      - .actual_access:  read_only
        .address_space:  global
        .offset:         24
        .size:           8
        .value_kind:     global_buffer
      - .actual_access:  read_only
        .address_space:  global
        .offset:         32
        .size:           8
        .value_kind:     global_buffer
      - .offset:         40
        .size:           8
        .value_kind:     by_value
      - .address_space:  global
        .offset:         48
        .size:           8
        .value_kind:     global_buffer
      - .address_space:  global
        .offset:         56
        .size:           8
        .value_kind:     global_buffer
      - .address_space:  global
        .offset:         64
        .size:           8
        .value_kind:     global_buffer
      - .address_space:  global
        .offset:         72
        .size:           8
        .value_kind:     global_buffer
      - .offset:         80
        .size:           4
        .value_kind:     by_value
      - .address_space:  global
        .offset:         88
        .size:           8
        .value_kind:     global_buffer
      - .address_space:  global
        .offset:         96
        .size:           8
        .value_kind:     global_buffer
    .group_segment_fixed_size: 6912
    .kernarg_segment_align: 8
    .kernarg_segment_size: 104
    .language:       OpenCL C
    .language_version:
      - 2
      - 0
    .max_flat_workgroup_size: 54
    .name:           bluestein_single_fwd_len864_dim1_sp_op_CI_CI
    .private_segment_fixed_size: 0
    .sgpr_count:     26
    .sgpr_spill_count: 0
    .symbol:         bluestein_single_fwd_len864_dim1_sp_op_CI_CI.kd
    .uniform_work_group_size: 1
    .uses_dynamic_stack: false
    .vgpr_count:     209
    .vgpr_spill_count: 0
    .wavefront_size: 64
amdhsa.target:   amdgcn-amd-amdhsa--gfx950
amdhsa.version:
  - 1
  - 2
...

	.end_amdgpu_metadata
